;; amdgpu-corpus repo=ROCm/rocFFT kind=compiled arch=gfx906 opt=O3
	.text
	.amdgcn_target "amdgcn-amd-amdhsa--gfx906"
	.amdhsa_code_object_version 6
	.protected	fft_rtc_fwd_len935_factors_17_11_5_wgs_255_tpt_85_halfLds_sp_ip_CI_sbrr_dirReg ; -- Begin function fft_rtc_fwd_len935_factors_17_11_5_wgs_255_tpt_85_halfLds_sp_ip_CI_sbrr_dirReg
	.globl	fft_rtc_fwd_len935_factors_17_11_5_wgs_255_tpt_85_halfLds_sp_ip_CI_sbrr_dirReg
	.p2align	8
	.type	fft_rtc_fwd_len935_factors_17_11_5_wgs_255_tpt_85_halfLds_sp_ip_CI_sbrr_dirReg,@function
fft_rtc_fwd_len935_factors_17_11_5_wgs_255_tpt_85_halfLds_sp_ip_CI_sbrr_dirReg: ; @fft_rtc_fwd_len935_factors_17_11_5_wgs_255_tpt_85_halfLds_sp_ip_CI_sbrr_dirReg
; %bb.0:
	s_load_dwordx2 s[2:3], s[4:5], 0x18
	s_load_dwordx4 s[8:11], s[4:5], 0x0
	s_load_dwordx2 s[14:15], s[4:5], 0x50
	v_mul_u32_u24_e32 v1, 0x304, v0
	v_lshrrev_b32_e32 v1, 16, v1
	s_waitcnt lgkmcnt(0)
	s_load_dwordx2 s[12:13], s[2:3], 0x0
	v_mad_u64_u32 v[2:3], s[0:1], s6, 3, v[1:2]
	v_mov_b32_e32 v6, 0
	v_cmp_lt_u64_e64 s[0:1], s[10:11], 2
	v_mov_b32_e32 v3, v6
	v_mov_b32_e32 v4, 0
	;; [unrolled: 1-line block ×3, first 2 shown]
	s_and_b64 vcc, exec, s[0:1]
	v_mov_b32_e32 v5, 0
	v_mov_b32_e32 v10, v2
	s_cbranch_vccnz .LBB0_8
; %bb.1:
	s_load_dwordx2 s[0:1], s[4:5], 0x10
	s_add_u32 s6, s2, 8
	s_addc_u32 s7, s3, 0
	v_mov_b32_e32 v4, 0
	v_mov_b32_e32 v9, v3
	s_waitcnt lgkmcnt(0)
	s_add_u32 s18, s0, 8
	s_mov_b64 s[16:17], 1
	v_mov_b32_e32 v5, 0
	s_addc_u32 s19, s1, 0
	v_mov_b32_e32 v8, v2
.LBB0_2:                                ; =>This Inner Loop Header: Depth=1
	s_load_dwordx2 s[20:21], s[18:19], 0x0
                                        ; implicit-def: $vgpr10_vgpr11
	s_waitcnt lgkmcnt(0)
	v_or_b32_e32 v7, s21, v9
	v_cmp_ne_u64_e32 vcc, 0, v[6:7]
	s_and_saveexec_b64 s[0:1], vcc
	s_xor_b64 s[22:23], exec, s[0:1]
	s_cbranch_execz .LBB0_4
; %bb.3:                                ;   in Loop: Header=BB0_2 Depth=1
	v_cvt_f32_u32_e32 v1, s20
	v_cvt_f32_u32_e32 v3, s21
	s_sub_u32 s0, 0, s20
	s_subb_u32 s1, 0, s21
	v_mac_f32_e32 v1, 0x4f800000, v3
	v_rcp_f32_e32 v1, v1
	v_mul_f32_e32 v1, 0x5f7ffffc, v1
	v_mul_f32_e32 v3, 0x2f800000, v1
	v_trunc_f32_e32 v3, v3
	v_mac_f32_e32 v1, 0xcf800000, v3
	v_cvt_u32_f32_e32 v3, v3
	v_cvt_u32_f32_e32 v1, v1
	v_mul_lo_u32 v7, s0, v3
	v_mul_hi_u32 v10, s0, v1
	v_mul_lo_u32 v12, s1, v1
	v_mul_lo_u32 v11, s0, v1
	v_add_u32_e32 v7, v10, v7
	v_add_u32_e32 v7, v7, v12
	v_mul_hi_u32 v10, v1, v11
	v_mul_lo_u32 v12, v1, v7
	v_mul_hi_u32 v14, v1, v7
	v_mul_hi_u32 v13, v3, v11
	v_mul_lo_u32 v11, v3, v11
	v_mul_hi_u32 v15, v3, v7
	v_add_co_u32_e32 v10, vcc, v10, v12
	v_addc_co_u32_e32 v12, vcc, 0, v14, vcc
	v_mul_lo_u32 v7, v3, v7
	v_add_co_u32_e32 v10, vcc, v10, v11
	v_addc_co_u32_e32 v10, vcc, v12, v13, vcc
	v_addc_co_u32_e32 v11, vcc, 0, v15, vcc
	v_add_co_u32_e32 v7, vcc, v10, v7
	v_addc_co_u32_e32 v10, vcc, 0, v11, vcc
	v_add_co_u32_e32 v1, vcc, v1, v7
	v_addc_co_u32_e32 v3, vcc, v3, v10, vcc
	v_mul_lo_u32 v7, s0, v3
	v_mul_hi_u32 v10, s0, v1
	v_mul_lo_u32 v11, s1, v1
	v_mul_lo_u32 v12, s0, v1
	v_add_u32_e32 v7, v10, v7
	v_add_u32_e32 v7, v7, v11
	v_mul_lo_u32 v13, v1, v7
	v_mul_hi_u32 v14, v1, v12
	v_mul_hi_u32 v15, v1, v7
	;; [unrolled: 1-line block ×3, first 2 shown]
	v_mul_lo_u32 v12, v3, v12
	v_mul_hi_u32 v10, v3, v7
	v_add_co_u32_e32 v13, vcc, v14, v13
	v_addc_co_u32_e32 v14, vcc, 0, v15, vcc
	v_mul_lo_u32 v7, v3, v7
	v_add_co_u32_e32 v12, vcc, v13, v12
	v_addc_co_u32_e32 v11, vcc, v14, v11, vcc
	v_addc_co_u32_e32 v10, vcc, 0, v10, vcc
	v_add_co_u32_e32 v7, vcc, v11, v7
	v_addc_co_u32_e32 v10, vcc, 0, v10, vcc
	v_add_co_u32_e32 v1, vcc, v1, v7
	v_addc_co_u32_e32 v3, vcc, v3, v10, vcc
	v_mad_u64_u32 v[10:11], s[0:1], v8, v3, 0
	v_mul_hi_u32 v7, v8, v1
	v_mad_u64_u32 v[12:13], s[0:1], v9, v3, 0
	v_add_co_u32_e32 v7, vcc, v7, v10
	v_addc_co_u32_e32 v14, vcc, 0, v11, vcc
	v_mad_u64_u32 v[10:11], s[0:1], v9, v1, 0
	v_add_co_u32_e32 v1, vcc, v7, v10
	v_addc_co_u32_e32 v1, vcc, v14, v11, vcc
	v_addc_co_u32_e32 v3, vcc, 0, v13, vcc
	v_add_co_u32_e32 v1, vcc, v1, v12
	v_addc_co_u32_e32 v3, vcc, 0, v3, vcc
	v_mul_lo_u32 v7, s21, v1
	v_mul_lo_u32 v12, s20, v3
	v_mad_u64_u32 v[10:11], s[0:1], s20, v1, 0
	v_add3_u32 v7, v11, v12, v7
	v_sub_u32_e32 v11, v9, v7
	v_mov_b32_e32 v12, s21
	v_sub_co_u32_e32 v10, vcc, v8, v10
	v_subb_co_u32_e64 v11, s[0:1], v11, v12, vcc
	v_subrev_co_u32_e64 v12, s[0:1], s20, v10
	v_subbrev_co_u32_e64 v11, s[0:1], 0, v11, s[0:1]
	v_cmp_le_u32_e64 s[0:1], s21, v11
	v_cndmask_b32_e64 v13, 0, -1, s[0:1]
	v_cmp_le_u32_e64 s[0:1], s20, v12
	v_cndmask_b32_e64 v12, 0, -1, s[0:1]
	v_cmp_eq_u32_e64 s[0:1], s21, v11
	v_cndmask_b32_e64 v11, v13, v12, s[0:1]
	v_add_co_u32_e64 v12, s[0:1], 2, v1
	v_addc_co_u32_e64 v13, s[0:1], 0, v3, s[0:1]
	v_add_co_u32_e64 v14, s[0:1], 1, v1
	v_addc_co_u32_e64 v15, s[0:1], 0, v3, s[0:1]
	v_subb_co_u32_e32 v7, vcc, v9, v7, vcc
	v_cmp_ne_u32_e64 s[0:1], 0, v11
	v_cmp_le_u32_e32 vcc, s21, v7
	v_cndmask_b32_e64 v11, v15, v13, s[0:1]
	v_cndmask_b32_e64 v13, 0, -1, vcc
	v_cmp_le_u32_e32 vcc, s20, v10
	v_cndmask_b32_e64 v10, 0, -1, vcc
	v_cmp_eq_u32_e32 vcc, s21, v7
	v_cndmask_b32_e32 v7, v13, v10, vcc
	v_cmp_ne_u32_e32 vcc, 0, v7
	v_cndmask_b32_e32 v11, v3, v11, vcc
	v_cndmask_b32_e64 v3, v14, v12, s[0:1]
	v_cndmask_b32_e32 v10, v1, v3, vcc
.LBB0_4:                                ;   in Loop: Header=BB0_2 Depth=1
	s_andn2_saveexec_b64 s[0:1], s[22:23]
	s_cbranch_execz .LBB0_6
; %bb.5:                                ;   in Loop: Header=BB0_2 Depth=1
	v_cvt_f32_u32_e32 v1, s20
	s_sub_i32 s22, 0, s20
	v_mov_b32_e32 v11, v6
	v_rcp_iflag_f32_e32 v1, v1
	v_mul_f32_e32 v1, 0x4f7ffffe, v1
	v_cvt_u32_f32_e32 v1, v1
	v_mul_lo_u32 v3, s22, v1
	v_mul_hi_u32 v3, v1, v3
	v_add_u32_e32 v1, v1, v3
	v_mul_hi_u32 v1, v8, v1
	v_mul_lo_u32 v3, v1, s20
	v_add_u32_e32 v7, 1, v1
	v_sub_u32_e32 v3, v8, v3
	v_subrev_u32_e32 v10, s20, v3
	v_cmp_le_u32_e32 vcc, s20, v3
	v_cndmask_b32_e32 v3, v3, v10, vcc
	v_cndmask_b32_e32 v1, v1, v7, vcc
	v_add_u32_e32 v7, 1, v1
	v_cmp_le_u32_e32 vcc, s20, v3
	v_cndmask_b32_e32 v10, v1, v7, vcc
.LBB0_6:                                ;   in Loop: Header=BB0_2 Depth=1
	s_or_b64 exec, exec, s[0:1]
	v_mul_lo_u32 v1, v11, s20
	v_mul_lo_u32 v3, v10, s21
	v_mad_u64_u32 v[12:13], s[0:1], v10, s20, 0
	s_load_dwordx2 s[0:1], s[6:7], 0x0
	s_add_u32 s16, s16, 1
	v_add3_u32 v1, v13, v3, v1
	v_sub_co_u32_e32 v3, vcc, v8, v12
	v_subb_co_u32_e32 v1, vcc, v9, v1, vcc
	s_waitcnt lgkmcnt(0)
	v_mul_lo_u32 v1, s0, v1
	v_mul_lo_u32 v7, s1, v3
	v_mad_u64_u32 v[4:5], s[0:1], s0, v3, v[4:5]
	s_addc_u32 s17, s17, 0
	s_add_u32 s6, s6, 8
	v_add3_u32 v5, v7, v5, v1
	v_mov_b32_e32 v7, s10
	v_mov_b32_e32 v8, s11
	s_addc_u32 s7, s7, 0
	v_cmp_ge_u64_e32 vcc, s[16:17], v[7:8]
	s_add_u32 s18, s18, 8
	s_addc_u32 s19, s19, 0
	s_cbranch_vccnz .LBB0_8
; %bb.7:                                ;   in Loop: Header=BB0_2 Depth=1
	v_mov_b32_e32 v8, v10
	v_mov_b32_e32 v9, v11
	s_branch .LBB0_2
.LBB0_8:
	s_lshl_b64 s[0:1], s[10:11], 3
	s_add_u32 s0, s2, s0
	s_addc_u32 s1, s3, s1
	s_load_dwordx2 s[2:3], s[0:1], 0x0
	s_load_dwordx2 s[6:7], s[4:5], 0x20
                                        ; implicit-def: $vgpr13
                                        ; implicit-def: $vgpr15
                                        ; implicit-def: $vgpr17
                                        ; implicit-def: $vgpr19
                                        ; implicit-def: $vgpr21
                                        ; implicit-def: $vgpr23
                                        ; implicit-def: $vgpr25
                                        ; implicit-def: $vgpr27
                                        ; implicit-def: $vgpr43
                                        ; implicit-def: $vgpr41
                                        ; implicit-def: $vgpr29
                                        ; implicit-def: $vgpr31
                                        ; implicit-def: $vgpr33
                                        ; implicit-def: $vgpr35
                                        ; implicit-def: $vgpr37
                                        ; implicit-def: $vgpr39
	s_waitcnt lgkmcnt(0)
	v_mad_u64_u32 v[3:4], s[0:1], s2, v10, v[4:5]
	s_mov_b32 s0, 0x3030304
	v_mul_lo_u32 v1, s2, v11
	v_mul_lo_u32 v6, s3, v10
	v_mul_hi_u32 v5, v0, s0
	v_cmp_gt_u64_e32 vcc, s[6:7], v[10:11]
	v_mov_b32_e32 v11, 0
	v_add3_u32 v4, v6, v4, v1
	v_mul_u32_u24_e32 v1, 0x55, v5
	v_sub_u32_e32 v54, v0, v1
	v_cmp_gt_u32_e64 s[0:1], 55, v54
	v_lshlrev_b64 v[0:1], 3, v[3:4]
	s_and_b64 s[2:3], vcc, s[0:1]
	v_mov_b32_e32 v10, 0
	s_and_saveexec_b64 s[4:5], s[2:3]
	s_cbranch_execz .LBB0_10
; %bb.9:
	v_mad_u64_u32 v[3:4], s[2:3], s12, v54, 0
	v_add_u32_e32 v8, 55, v54
	v_mov_b32_e32 v7, s15
	v_mad_u64_u32 v[4:5], s[2:3], s13, v54, v[4:5]
	v_mad_u64_u32 v[5:6], s[2:3], s12, v8, 0
	v_add_co_u32_e64 v17, s[2:3], s14, v0
	v_addc_co_u32_e64 v18, s[2:3], v7, v1, s[2:3]
	v_mad_u64_u32 v[6:7], s[2:3], s13, v8, v[6:7]
	v_add_u32_e32 v9, 0x6e, v54
	v_mad_u64_u32 v[7:8], s[2:3], s12, v9, 0
	v_lshlrev_b64 v[3:4], 3, v[3:4]
	v_add_u32_e32 v11, 0xa5, v54
	v_add_co_u32_e64 v3, s[2:3], v17, v3
	v_addc_co_u32_e64 v4, s[2:3], v18, v4, s[2:3]
	v_mad_u64_u32 v[8:9], s[2:3], s13, v9, v[8:9]
	v_mad_u64_u32 v[9:10], s[2:3], s12, v11, 0
	v_lshlrev_b64 v[5:6], 3, v[5:6]
	v_add_u32_e32 v13, 0xdc, v54
	v_add_co_u32_e64 v5, s[2:3], v17, v5
	v_addc_co_u32_e64 v6, s[2:3], v18, v6, s[2:3]
	v_mad_u64_u32 v[10:11], s[2:3], s13, v11, v[10:11]
	;; [unrolled: 6-line block ×3, first 2 shown]
	v_mad_u64_u32 v[13:14], s[2:3], s12, v15, 0
	v_lshlrev_b64 v[9:10], 3, v[9:10]
	v_add_co_u32_e64 v40, s[2:3], v17, v9
	v_addc_co_u32_e64 v41, s[2:3], v18, v10, s[2:3]
	v_lshlrev_b64 v[9:10], 3, v[11:12]
	v_mov_b32_e32 v11, v14
	v_mad_u64_u32 v[11:12], s[2:3], s13, v15, v[11:12]
	v_add_u32_e32 v12, 0x14a, v54
	v_mad_u64_u32 v[15:16], s[2:3], s12, v12, 0
	v_add_co_u32_e64 v42, s[2:3], v17, v9
	v_mov_b32_e32 v14, v11
	v_mov_b32_e32 v11, v16
	v_addc_co_u32_e64 v43, s[2:3], v18, v10, s[2:3]
	v_lshlrev_b64 v[9:10], 3, v[13:14]
	v_mad_u64_u32 v[11:12], s[2:3], s13, v12, v[11:12]
	v_add_u32_e32 v14, 0x181, v54
	v_mad_u64_u32 v[12:13], s[2:3], s12, v14, 0
	v_add_co_u32_e64 v44, s[2:3], v17, v9
	v_mov_b32_e32 v16, v11
	v_mov_b32_e32 v11, v13
	v_addc_co_u32_e64 v45, s[2:3], v18, v10, s[2:3]
	v_lshlrev_b64 v[9:10], 3, v[15:16]
	v_mad_u64_u32 v[13:14], s[2:3], s13, v14, v[11:12]
	v_add_u32_e32 v16, 0x1b8, v54
	v_mad_u64_u32 v[14:15], s[2:3], s12, v16, 0
	v_add_co_u32_e64 v46, s[2:3], v17, v9
	v_mov_b32_e32 v11, v15
	v_addc_co_u32_e64 v47, s[2:3], v18, v10, s[2:3]
	v_lshlrev_b64 v[9:10], 3, v[12:13]
	v_mad_u64_u32 v[11:12], s[2:3], s13, v16, v[11:12]
	v_add_u32_e32 v16, 0x1ef, v54
	v_mad_u64_u32 v[12:13], s[2:3], s12, v16, 0
	v_add_co_u32_e64 v48, s[2:3], v17, v9
	v_mov_b32_e32 v15, v11
	v_mov_b32_e32 v11, v13
	v_addc_co_u32_e64 v49, s[2:3], v18, v10, s[2:3]
	v_lshlrev_b64 v[9:10], 3, v[14:15]
	v_mad_u64_u32 v[13:14], s[2:3], s13, v16, v[11:12]
	v_add_u32_e32 v16, 0x226, v54
	v_mad_u64_u32 v[14:15], s[2:3], s12, v16, 0
	v_add_co_u32_e64 v50, s[2:3], v17, v9
	;; [unrolled: 15-line block ×5, first 2 shown]
	v_mov_b32_e32 v11, v15
	v_addc_co_u32_e64 v64, s[2:3], v18, v10, s[2:3]
	v_lshlrev_b64 v[9:10], 3, v[12:13]
	v_mad_u64_u32 v[11:12], s[2:3], s13, v16, v[11:12]
	v_add_co_u32_e64 v65, s[2:3], v17, v9
	v_mov_b32_e32 v15, v11
	v_addc_co_u32_e64 v66, s[2:3], v18, v10, s[2:3]
	v_lshlrev_b64 v[9:10], 3, v[14:15]
	v_add_co_u32_e64 v67, s[2:3], v17, v9
	v_addc_co_u32_e64 v68, s[2:3], v18, v10, s[2:3]
	global_load_dwordx2 v[10:11], v[3:4], off
	global_load_dwordx2 v[12:13], v[5:6], off
	;; [unrolled: 1-line block ×15, first 2 shown]
                                        ; kill: killed $vgpr42 killed $vgpr43
                                        ; kill: killed $vgpr57 killed $vgpr58
                                        ; kill: killed $vgpr46 killed $vgpr47
                                        ; kill: killed $vgpr5 killed $vgpr6
                                        ; kill: killed $vgpr61 killed $vgpr62
                                        ; kill: killed $vgpr50 killed $vgpr51
                                        ; kill: killed $vgpr40 killed $vgpr41
                                        ; kill: killed $vgpr55 killed $vgpr56
                                        ; kill: killed $vgpr44 killed $vgpr45
                                        ; kill: killed $vgpr3 killed $vgpr4
                                        ; kill: killed $vgpr59 killed $vgpr60
                                        ; kill: killed $vgpr48 killed $vgpr49
                                        ; kill: killed $vgpr7 killed $vgpr8
                                        ; kill: killed $vgpr63 killed $vgpr64
                                        ; kill: killed $vgpr52 killed $vgpr53
	global_load_dwordx2 v[40:41], v[65:66], off
	global_load_dwordx2 v[42:43], v[67:68], off
.LBB0_10:
	s_or_b64 exec, exec, s[4:5]
	s_mov_b32 s2, 0xaaaaaaab
	v_mul_hi_u32 v3, v2, s2
	s_waitcnt vmcnt(0)
	v_add_f32_e32 v7, v12, v42
	v_mul_f32_e32 v53, 0x3dbcf732, v7
	v_sub_f32_e32 v8, v13, v43
	v_lshrrev_b32_e32 v3, 1, v3
	v_lshl_add_u32 v3, v3, 1, v3
	v_sub_u32_e32 v3, v2, v3
	v_mov_b32_e32 v2, v53
	v_fmac_f32_e32 v2, 0xbf7ee86f, v8
	v_add_f32_e32 v4, v10, v2
	v_add_f32_e32 v2, v14, v40
	v_mul_f32_e32 v58, 0xbf7ba420, v2
	v_sub_f32_e32 v44, v15, v41
	v_mov_b32_e32 v5, v58
	v_mul_f32_e32 v59, 0xbe8c1d8e, v7
	v_fmac_f32_e32 v5, 0xbe3c28d5, v44
	v_add_f32_e32 v4, v4, v5
	v_mov_b32_e32 v5, v59
	v_mul_f32_e32 v62, 0xbf59a7d5, v2
	v_fmac_f32_e32 v5, 0xbf763a35, v8
	v_mov_b32_e32 v6, v62
	v_add_f32_e32 v9, v16, v28
	v_add_f32_e32 v5, v10, v5
	v_fmac_f32_e32 v6, 0x3f06c442, v44
	v_mul_f32_e32 v61, 0xbe8c1d8e, v9
	v_add_f32_e32 v5, v5, v6
	v_sub_f32_e32 v46, v17, v29
	v_mov_b32_e32 v6, v61
	v_fmac_f32_e32 v6, 0x3f763a35, v46
	v_mul_f32_e32 v64, 0x3f3d2fb0, v9
	v_add_f32_e32 v4, v4, v6
	v_mov_b32_e32 v6, v64
	v_add_f32_e32 v45, v18, v30
	v_fmac_f32_e32 v6, 0x3f2c7751, v46
	v_mul_f32_e32 v63, 0x3f6eb680, v45
	v_add_f32_e32 v5, v5, v6
	v_sub_f32_e32 v48, v19, v31
	v_mov_b32_e32 v6, v63
	v_fmac_f32_e32 v6, 0x3eb8f4ab, v48
	v_mul_f32_e32 v66, 0x3ee437d1, v45
	v_add_f32_e32 v4, v4, v6
	v_mov_b32_e32 v6, v66
	;; [unrolled: 10-line block ×6, first 2 shown]
	v_fmac_f32_e32 v4, 0xbf4c4adb, v60
	v_mul_f32_e32 v73, 0x3ee437d1, v7
	v_add_f32_e32 v4, v6, v4
	v_mov_b32_e32 v6, v73
	v_mul_f32_e32 v74, 0xbf1a4643, v2
	v_fmac_f32_e32 v6, 0xbf65296c, v8
	v_mov_b32_e32 v55, v74
	v_add_f32_e32 v6, v10, v6
	v_fmac_f32_e32 v55, 0xbf4c4adb, v44
	v_mul_f32_e32 v82, 0xbf1a4643, v7
	v_add_f32_e32 v6, v6, v55
	v_mov_b32_e32 v55, v82
	v_mul_f32_e32 v83, 0xbe8c1d8e, v2
	v_fmac_f32_e32 v55, 0xbf4c4adb, v8
	v_mov_b32_e32 v75, v83
	v_add_f32_e32 v55, v10, v55
	v_fmac_f32_e32 v75, 0x3f763a35, v44
	v_add_f32_e32 v55, v55, v75
	v_mul_f32_e32 v75, 0xbf7ba420, v9
	v_mov_b32_e32 v77, v75
	v_fmac_f32_e32 v77, 0x3e3c28d5, v46
	v_mul_f32_e32 v84, 0x3f6eb680, v9
	v_add_f32_e32 v6, v6, v77
	v_mov_b32_e32 v77, v84
	v_fmac_f32_e32 v77, 0xbeb8f4ab, v46
	v_add_f32_e32 v55, v55, v77
	v_mul_f32_e32 v77, 0xbe8c1d8e, v45
	v_mov_b32_e32 v78, v77
	v_fmac_f32_e32 v78, 0x3f763a35, v48
	v_mul_f32_e32 v85, 0xbf59a7d5, v45
	v_add_f32_e32 v6, v6, v78
	v_mov_b32_e32 v78, v85
	;; [unrolled: 8-line block ×5, first 2 shown]
	v_fmac_f32_e32 v81, 0xbe3c28d5, v57
	v_add_f32_e32 v90, v55, v81
	v_mul_f32_e32 v81, 0xbf59a7d5, v56
	v_mov_b32_e32 v55, v81
	v_fmac_f32_e32 v55, 0xbf06c442, v60
	v_mul_f32_e32 v89, 0x3ee437d1, v56
	v_add_f32_e32 v55, v6, v55
	v_mul_u32_u24_e32 v6, 0x3a7, v3
	v_mov_b32_e32 v3, v89
	v_fmac_f32_e32 v3, 0x3f65296c, v60
	s_mov_b32 s4, 0x3ee437d1
	s_mov_b32 s11, 0x3dbcf732
	;; [unrolled: 1-line block ×8, first 2 shown]
	v_add_f32_e32 v3, v90, v3
	v_lshlrev_b32_e32 v6, 2, v6
	s_and_saveexec_b64 s[2:3], s[0:1]
	s_cbranch_execz .LBB0_12
; %bb.11:
	v_mul_f32_e32 v113, 0xbe3c28d5, v8
	v_mov_b32_e32 v114, v113
	v_mul_f32_e32 v115, 0x3eb8f4ab, v44
	v_fmac_f32_e32 v114, 0xbf7ba420, v7
	v_mov_b32_e32 v116, v115
	v_add_f32_e32 v114, v10, v114
	v_fmac_f32_e32 v116, 0x3f6eb680, v2
	v_add_f32_e32 v114, v114, v116
	v_mul_f32_e32 v116, 0xbf06c442, v46
	v_mov_b32_e32 v117, v116
	v_fmac_f32_e32 v117, 0xbf59a7d5, v9
	v_add_f32_e32 v114, v114, v117
	v_mul_f32_e32 v117, 0x3f2c7751, v48
	v_mov_b32_e32 v118, v117
	;; [unrolled: 4-line block ×3, first 2 shown]
	v_fmac_f32_e32 v119, 0xbf1a4643, v47
	v_add_f32_e32 v114, v114, v119
	v_mul_f32_e32 v119, 0x3f65296c, v52
	v_fma_f32 v113, v7, s10, -v113
	v_mov_b32_e32 v120, v119
	v_add_f32_e32 v113, v10, v113
	v_fma_f32 v115, v2, s16, -v115
	v_fmac_f32_e32 v120, 0x3ee437d1, v49
	v_add_f32_e32 v113, v113, v115
	v_fma_f32 v115, v9, s7, -v116
	v_add_f32_e32 v114, v114, v120
	v_mul_f32_e32 v120, 0xbf763a35, v57
	v_add_f32_e32 v113, v113, v115
	v_fma_f32 v115, v45, s6, -v117
	v_mov_b32_e32 v121, v120
	v_add_f32_e32 v113, v113, v115
	v_fma_f32 v115, v47, s5, -v118
	v_fmac_f32_e32 v121, 0xbe8c1d8e, v51
	v_add_f32_e32 v113, v113, v115
	v_fma_f32 v115, v49, s4, -v119
	v_add_f32_e32 v114, v114, v121
	v_mul_f32_e32 v121, 0x3f7ee86f, v60
	v_add_f32_e32 v113, v113, v115
	v_fma_f32 v115, v51, s17, -v120
	v_add_f32_e32 v113, v113, v115
	v_fma_f32 v115, v56, s11, -v121
	v_add_f32_e32 v113, v113, v115
	v_mul_f32_e32 v115, 0xbf06c442, v8
	v_mov_b32_e32 v116, v115
	v_mul_f32_e32 v117, 0x3f65296c, v44
	v_fmac_f32_e32 v116, 0xbf59a7d5, v7
	v_mov_b32_e32 v118, v117
	v_add_f32_e32 v116, v10, v116
	v_fmac_f32_e32 v118, 0x3ee437d1, v2
	v_add_f32_e32 v116, v116, v118
	v_mul_f32_e32 v118, 0xbf7ee86f, v46
	v_mov_b32_e32 v119, v118
	v_fmac_f32_e32 v119, 0x3dbcf732, v9
	v_add_f32_e32 v116, v116, v119
	v_mul_f32_e32 v119, 0x3f4c4adb, v48
	v_mov_b32_e32 v120, v119
	v_fmac_f32_e32 v120, 0xbf1a4643, v45
	v_add_f32_e32 v116, v116, v120
	v_mul_f32_e32 v120, 0xbeb8f4ab, v50
	v_mul_f32_e32 v91, 0xbf7ee86f, v8
	v_mov_b32_e32 v122, v121
	v_mov_b32_e32 v121, v120
	v_fma_f32 v115, v7, s7, -v115
	v_mul_f32_e32 v95, 0xbe3c28d5, v44
	v_fmac_f32_e32 v121, 0x3f6eb680, v47
	v_add_f32_e32 v115, v10, v115
	v_fma_f32 v117, v2, s4, -v117
	v_sub_f32_e32 v53, v53, v91
	v_mul_f32_e32 v99, 0x3f763a35, v46
	v_fmac_f32_e32 v122, 0x3dbcf732, v56
	v_add_f32_e32 v116, v116, v121
	v_mul_f32_e32 v121, 0xbe3c28d5, v52
	v_add_f32_e32 v115, v115, v117
	v_fma_f32 v118, v9, s11, -v118
	v_add_f32_e32 v53, v10, v53
	v_sub_f32_e32 v58, v58, v95
	v_mul_f32_e32 v103, 0x3eb8f4ab, v48
	v_add_f32_e32 v114, v114, v122
	v_mov_b32_e32 v122, v121
	v_add_f32_e32 v115, v115, v118
	v_fma_f32 v119, v45, s5, -v119
	v_add_f32_e32 v53, v53, v58
	v_sub_f32_e32 v58, v61, v99
	v_mul_f32_e32 v107, 0xbf65296c, v50
	v_fmac_f32_e32 v122, 0xbf7ba420, v49
	v_add_f32_e32 v115, v115, v119
	v_fma_f32 v120, v47, s16, -v120
	v_add_f32_e32 v53, v53, v58
	v_sub_f32_e32 v58, v63, v103
	v_mul_f32_e32 v111, 0xbf06c442, v52
	v_add_f32_e32 v116, v116, v122
	v_mul_f32_e32 v122, 0x3f2c7751, v57
	v_add_f32_e32 v115, v115, v120
	v_fma_f32 v121, v49, s10, -v121
	v_add_f32_e32 v53, v53, v58
	v_sub_f32_e32 v58, v65, v107
	v_mov_b32_e32 v123, v122
	v_mul_f32_e32 v118, 0x3f4c4adb, v57
	v_add_f32_e32 v115, v115, v121
	v_fma_f32 v122, v51, s6, -v122
	v_add_f32_e32 v53, v53, v58
	v_sub_f32_e32 v58, v67, v111
	v_add_f32_e32 v115, v115, v122
	v_mul_f32_e32 v122, 0x3f2c7751, v60
	v_add_f32_e32 v53, v53, v58
	v_sub_f32_e32 v58, v69, v118
	v_mul_f32_e32 v90, 0xbf65296c, v8
	v_add_f32_e32 v53, v53, v58
	v_sub_f32_e32 v58, v71, v122
	v_mul_f32_e32 v92, 0xbf763a35, v8
	v_mul_f32_e32 v94, 0xbf4c4adb, v44
	v_add_f32_e32 v53, v53, v58
	v_sub_f32_e32 v58, v73, v90
	v_mul_f32_e32 v96, 0x3f06c442, v44
	v_mul_f32_e32 v98, 0x3e3c28d5, v46
	v_sub_f32_e32 v59, v59, v92
	v_add_f32_e32 v58, v10, v58
	v_sub_f32_e32 v61, v74, v94
	v_mul_f32_e32 v100, 0x3f2c7751, v46
	v_mul_f32_e32 v102, 0x3f763a35, v48
	v_add_f32_e32 v59, v10, v59
	v_sub_f32_e32 v62, v62, v96
	v_add_f32_e32 v58, v58, v61
	v_sub_f32_e32 v61, v75, v98
	v_mul_f32_e32 v104, 0xbf65296c, v48
	v_mul_f32_e32 v106, 0x3f2c7751, v50
	v_add_f32_e32 v59, v59, v62
	v_sub_f32_e32 v62, v64, v100
	v_add_f32_e32 v58, v58, v61
	v_sub_f32_e32 v61, v77, v102
	v_mul_f32_e32 v108, 0xbe3c28d5, v50
	v_mul_f32_e32 v110, 0xbeb8f4ab, v52
	v_fmac_f32_e32 v123, 0x3f3d2fb0, v51
	v_add_f32_e32 v59, v59, v62
	v_sub_f32_e32 v62, v66, v104
	v_add_f32_e32 v58, v58, v61
	v_sub_f32_e32 v61, v78, v106
	v_mul_f32_e32 v112, 0x3f7ee86f, v52
	v_add_f32_e32 v116, v116, v123
	v_mul_f32_e32 v123, 0xbf763a35, v60
	v_mul_f32_e32 v117, 0xbf7ee86f, v57
	v_add_f32_e32 v59, v59, v62
	v_sub_f32_e32 v62, v68, v108
	v_add_f32_e32 v58, v58, v61
	v_sub_f32_e32 v61, v79, v110
	v_mov_b32_e32 v124, v123
	v_mul_f32_e32 v119, 0xbeb8f4ab, v57
	v_mul_f32_e32 v121, 0xbf06c442, v60
	v_fma_f32 v123, v56, s17, -v123
	v_add_f32_e32 v59, v59, v62
	v_sub_f32_e32 v62, v70, v112
	v_add_f32_e32 v58, v58, v61
	v_sub_f32_e32 v61, v80, v117
	v_add_f32_e32 v115, v115, v123
	v_mul_f32_e32 v123, 0xbf4c4adb, v60
	v_add_f32_e32 v59, v59, v62
	v_sub_f32_e32 v62, v72, v119
	v_add_f32_e32 v58, v58, v61
	v_sub_f32_e32 v61, v81, v121
	v_add_f32_e32 v59, v59, v62
	v_sub_f32_e32 v62, v76, v123
	v_add_f32_e32 v58, v58, v61
	v_mul_f32_e32 v61, 0xbf2c7751, v8
	v_add_f32_e32 v59, v59, v62
	v_mov_b32_e32 v62, v61
	v_mul_f32_e32 v63, 0xbf7ee86f, v44
	v_fmac_f32_e32 v62, 0x3f3d2fb0, v7
	v_mov_b32_e32 v64, v63
	v_add_f32_e32 v62, v10, v62
	v_fmac_f32_e32 v64, 0x3dbcf732, v2
	v_add_f32_e32 v62, v62, v64
	v_mul_f32_e32 v64, 0xbf4c4adb, v46
	v_mov_b32_e32 v65, v64
	v_fmac_f32_e32 v65, 0xbf1a4643, v9
	v_add_f32_e32 v62, v62, v65
	v_mul_f32_e32 v65, 0xbe3c28d5, v48
	v_mov_b32_e32 v66, v65
	;; [unrolled: 4-line block ×3, first 2 shown]
	v_fmac_f32_e32 v67, 0xbf59a7d5, v47
	v_add_f32_e32 v62, v62, v67
	v_mul_f32_e32 v67, 0x3f763a35, v52
	v_fma_f32 v61, v7, s6, -v61
	v_mov_b32_e32 v68, v67
	v_add_f32_e32 v61, v10, v61
	v_fma_f32 v63, v2, s11, -v63
	v_fmac_f32_e32 v68, 0xbe8c1d8e, v49
	v_add_f32_e32 v61, v61, v63
	v_fma_f32 v63, v9, s5, -v64
	v_add_f32_e32 v62, v62, v68
	v_mul_f32_e32 v68, 0x3f65296c, v57
	v_add_f32_e32 v61, v61, v63
	v_fma_f32 v63, v45, s10, -v65
	v_mov_b32_e32 v69, v68
	v_add_f32_e32 v61, v61, v63
	v_fma_f32 v63, v47, s7, -v66
	v_fmac_f32_e32 v69, 0x3ee437d1, v51
	v_add_f32_e32 v61, v61, v63
	v_fma_f32 v63, v49, s17, -v67
	v_add_f32_e32 v62, v62, v69
	v_mul_f32_e32 v69, 0x3eb8f4ab, v60
	v_add_f32_e32 v61, v61, v63
	v_fma_f32 v63, v51, s4, -v68
	v_mul_f32_e32 v93, 0xbf4c4adb, v8
	v_add_f32_e32 v61, v61, v63
	v_fma_f32 v63, v56, s16, -v69
	v_mul_f32_e32 v8, 0xbeb8f4ab, v8
	v_mul_f32_e32 v97, 0x3f763a35, v44
	v_add_f32_e32 v61, v61, v63
	v_mov_b32_e32 v63, v8
	v_mul_f32_e32 v44, 0xbf2c7751, v44
	v_fmac_f32_e32 v63, 0x3f6eb680, v7
	v_mov_b32_e32 v64, v44
	v_fma_f32 v7, v7, s16, -v8
	v_mul_f32_e32 v101, 0xbeb8f4ab, v46
	v_fmac_f32_e32 v64, 0x3f3d2fb0, v2
	v_mul_f32_e32 v46, 0xbf65296c, v46
	v_add_f32_e32 v7, v10, v7
	v_fma_f32 v2, v2, s6, -v44
	v_mul_f32_e32 v105, 0xbf06c442, v48
	v_mul_f32_e32 v48, 0xbf7ee86f, v48
	v_add_f32_e32 v2, v7, v2
	v_fma_f32 v7, v9, s4, -v46
	v_mul_f32_e32 v109, 0x3f7ee86f, v50
	v_fmac_f32_e32 v124, 0xbe8c1d8e, v56
	v_mul_f32_e32 v50, 0xbf763a35, v50
	v_add_f32_e32 v2, v2, v7
	v_fma_f32 v7, v45, s11, -v48
	v_add_f32_e32 v116, v116, v124
	v_mul_f32_e32 v124, 0xbf2c7751, v52
	v_mul_f32_e32 v52, 0xbf4c4adb, v52
	v_add_f32_e32 v2, v2, v7
	v_fma_f32 v7, v47, s17, -v50
	v_mul_f32_e32 v120, 0xbe3c28d5, v57
	v_mul_f32_e32 v57, 0xbf06c442, v57
	v_add_f32_e32 v2, v2, v7
	v_fma_f32 v7, v49, s5, -v52
	v_sub_f32_e32 v82, v82, v93
	v_mul_f32_e32 v93, 0x3f65296c, v60
	v_mul_f32_e32 v60, 0xbe3c28d5, v60
	v_add_f32_e32 v2, v2, v7
	v_fma_f32 v7, v51, s7, -v57
	v_add_f32_e32 v2, v2, v7
	v_fma_f32 v7, v56, s10, -v60
	v_add_f32_e32 v2, v2, v7
	v_add_f32_e32 v7, v10, v12
	;; [unrolled: 1-line block ×7, first 2 shown]
	v_mov_b32_e32 v64, v46
	v_add_f32_e32 v7, v7, v20
	v_fmac_f32_e32 v64, 0x3ee437d1, v9
	v_add_f32_e32 v7, v7, v22
	v_add_f32_e32 v63, v63, v64
	v_mov_b32_e32 v64, v48
	v_add_f32_e32 v7, v7, v24
	v_fmac_f32_e32 v64, 0x3dbcf732, v45
	v_add_f32_e32 v7, v7, v26
	v_add_f32_e32 v63, v63, v64
	v_mov_b32_e32 v64, v50
	v_add_f32_e32 v7, v7, v38
	v_add_f32_e32 v82, v10, v82
	v_sub_f32_e32 v83, v83, v97
	v_fmac_f32_e32 v64, 0xbe8c1d8e, v47
	v_add_f32_e32 v7, v36, v7
	v_add_f32_e32 v82, v82, v83
	v_sub_f32_e32 v83, v84, v101
	v_add_f32_e32 v63, v63, v64
	v_mov_b32_e32 v64, v52
	v_add_f32_e32 v7, v34, v7
	v_add_f32_e32 v82, v82, v83
	v_sub_f32_e32 v83, v85, v105
	v_fmac_f32_e32 v64, 0xbf1a4643, v49
	v_add_f32_e32 v7, v32, v7
	v_add_f32_e32 v82, v82, v83
	v_sub_f32_e32 v83, v86, v109
	;; [unrolled: 9-line block ×3, first 2 shown]
	v_mov_b32_e32 v70, v69
	v_add_f32_e32 v63, v63, v64
	v_mov_b32_e32 v64, v60
	v_add_f32_e32 v7, v40, v7
	v_mul_u32_u24_e32 v8, 0x44, v54
	v_add_f32_e32 v82, v82, v83
	v_sub_f32_e32 v83, v89, v93
	v_fmac_f32_e32 v70, 0x3f6eb680, v56
	v_fmac_f32_e32 v64, 0xbf7ba420, v56
	v_add_f32_e32 v7, v42, v7
	v_add3_u32 v8, 0, v8, v6
	v_add_f32_e32 v82, v82, v83
	v_add_f32_e32 v62, v62, v70
	;; [unrolled: 1-line block ×3, first 2 shown]
	ds_write2_b32 v8, v7, v2 offset1:1
	ds_write2_b32 v8, v61, v58 offset0:2 offset1:3
	ds_write2_b32 v8, v53, v59 offset0:4 offset1:5
	;; [unrolled: 1-line block ×7, first 2 shown]
	ds_write_b32 v8, v63 offset:64
.LBB0_12:
	s_or_b64 exec, exec, s[2:3]
	v_sub_f32_e32 v91, v12, v42
	v_add_f32_e32 v86, v13, v43
	v_mul_f32_e32 v92, 0xbf65296c, v91
	v_sub_f32_e32 v85, v14, v40
	v_fma_f32 v2, v86, s4, -v92
	v_mul_f32_e32 v93, 0xbf7ee86f, v91
	v_add_f32_e32 v80, v15, v41
	v_mul_f32_e32 v87, 0xbf4c4adb, v85
	v_add_f32_e32 v2, v11, v2
	v_fma_f32 v7, v86, s11, -v93
	v_mul_f32_e32 v94, 0xbf763a35, v91
	v_fma_f32 v10, v80, s5, -v87
	v_mul_f32_e32 v88, 0xbe3c28d5, v85
	v_add_f32_e32 v7, v11, v7
	v_fma_f32 v8, v86, s17, -v94
	v_mul_f32_e32 v95, 0xbf4c4adb, v91
	v_add_f32_e32 v2, v2, v10
	v_fma_f32 v10, v80, s10, -v88
	v_mul_f32_e32 v89, 0x3f06c442, v85
	v_add_f32_e32 v8, v11, v8
	v_fma_f32 v9, v86, s5, -v95
	v_add_f32_e32 v7, v7, v10
	v_fma_f32 v10, v80, s7, -v89
	v_mul_f32_e32 v90, 0x3f763a35, v85
	v_sub_f32_e32 v78, v16, v28
	v_add_f32_e32 v9, v11, v9
	v_add_f32_e32 v8, v8, v10
	v_fma_f32 v10, v80, s17, -v90
	v_add_f32_e32 v74, v17, v29
	v_mul_f32_e32 v81, 0x3e3c28d5, v78
	v_add_f32_e32 v9, v9, v10
	v_fma_f32 v10, v74, s10, -v81
	v_mul_f32_e32 v82, 0x3f763a35, v78
	v_add_f32_e32 v2, v2, v10
	v_fma_f32 v10, v74, s17, -v82
	v_mul_f32_e32 v83, 0x3f2c7751, v78
	v_add_f32_e32 v7, v7, v10
	v_fma_f32 v10, v74, s6, -v83
	v_mul_f32_e32 v84, 0xbeb8f4ab, v78
	v_sub_f32_e32 v73, v18, v30
	v_add_f32_e32 v8, v8, v10
	v_fma_f32 v10, v74, s16, -v84
	v_add_f32_e32 v68, v19, v31
	v_mul_f32_e32 v75, 0x3f763a35, v73
	v_add_f32_e32 v9, v9, v10
	v_fma_f32 v10, v68, s17, -v75
	v_mul_f32_e32 v76, 0x3eb8f4ab, v73
	v_add_f32_e32 v2, v2, v10
	v_fma_f32 v10, v68, s16, -v76
	v_mul_f32_e32 v77, 0xbf65296c, v73
	v_add_f32_e32 v7, v7, v10
	v_fma_f32 v10, v68, s4, -v77
	v_mul_f32_e32 v79, 0xbf06c442, v73
	v_sub_f32_e32 v66, v20, v32
	;; [unrolled: 14-line block ×4, first 2 shown]
	v_add_f32_e32 v8, v8, v10
	v_fma_f32 v10, v56, s6, -v67
	v_add_f32_e32 v28, v25, v37
	v_mul_f32_e32 v57, 0xbf7ee86f, v40
	v_add_f32_e32 v9, v9, v10
	v_fma_f32 v10, v28, s11, -v57
	v_mul_f32_e32 v58, 0x3f4c4adb, v40
	v_add_f32_e32 v2, v2, v10
	v_fma_f32 v10, v28, s5, -v58
	;; [unrolled: 3-line block ×4, first 2 shown]
	v_sub_f32_e32 v24, v26, v38
	v_add_f32_e32 v96, v9, v10
	v_add_f32_e32 v22, v27, v39
	v_mul_f32_e32 v34, 0xbf06c442, v24
	v_lshlrev_b32_e32 v10, 2, v54
	v_fma_f32 v9, v22, s7, -v34
	v_mul_f32_e32 v36, 0x3f2c7751, v24
	v_add_u32_e32 v26, 0, v10
	v_add_f32_e32 v30, v2, v9
	v_fma_f32 v2, v22, s6, -v36
	v_mul_f32_e32 v38, 0xbf4c4adb, v24
	v_add_u32_e32 v12, v26, v6
	v_add_f32_e32 v9, v7, v2
	v_fma_f32 v2, v22, s5, -v38
	v_add3_u32 v32, 0, v6, v10
	v_add_u32_e32 v14, 0x200, v12
	v_add_u32_e32 v18, 0x400, v12
	v_add_u32_e32 v16, 0x800, v12
	v_add_u32_e32 v20, 0xa00, v12
	v_add_f32_e32 v8, v8, v2
	s_waitcnt lgkmcnt(0)
	s_barrier
	ds_read_b32 v2, v32
	ds_read2_b32 v[52:53], v12 offset0:85 offset1:170
	ds_read2_b32 v[50:51], v14 offset0:127 offset1:212
	;; [unrolled: 1-line block ×5, first 2 shown]
	v_mul_f32_e32 v42, 0x3f65296c, v24
	v_fma_f32 v7, v22, s4, -v42
	v_add_f32_e32 v7, v96, v7
	s_waitcnt lgkmcnt(0)
	s_barrier
	s_and_saveexec_b64 s[2:3], s[0:1]
	s_cbranch_execz .LBB0_14
; %bb.13:
	v_add_f32_e32 v13, v11, v13
	v_add_f32_e32 v13, v13, v15
	;; [unrolled: 1-line block ×14, first 2 shown]
	v_mul_f32_e32 v39, 0xbe3c28d5, v91
	v_mul_f32_e32 v96, 0x3ee437d1, v86
	;; [unrolled: 1-line block ×5, first 2 shown]
	v_add_f32_e32 v13, v41, v13
	v_mul_f32_e32 v19, 0xbeb8f4ab, v91
	s_mov_b32 s0, 0x3f6eb680
	v_mul_f32_e32 v23, 0xbf2c7751, v91
	s_mov_b32 s4, 0x3f3d2fb0
	;; [unrolled: 2-line block ×3, first 2 shown]
	s_mov_b32 s5, 0xbf7ba420
	v_mov_b32_e32 v41, v39
	v_fma_f32 v21, v86, s0, -v19
	v_fmac_f32_e32 v19, 0x3f6eb680, v86
	v_fma_f32 v25, v86, s4, -v23
	v_fmac_f32_e32 v23, 0x3f3d2fb0, v86
	v_add_f32_e32 v27, v96, v92
	v_add_f32_e32 v29, v97, v93
	;; [unrolled: 1-line block ×4, first 2 shown]
	v_fma_f32 v37, v86, s6, -v35
	v_fmac_f32_e32 v35, 0xbf59a7d5, v86
	v_fmac_f32_e32 v41, 0xbf7ba420, v86
	v_fma_f32 v39, v86, s5, -v39
	v_add_f32_e32 v19, v11, v19
	v_add_f32_e32 v21, v11, v21
	;; [unrolled: 1-line block ×12, first 2 shown]
	v_mul_f32_e32 v39, 0xbf2c7751, v85
	v_add_f32_e32 v13, v43, v13
	v_fma_f32 v43, v80, s4, -v39
	v_fmac_f32_e32 v39, 0x3f3d2fb0, v80
	v_add_f32_e32 v19, v19, v39
	v_mul_f32_e32 v39, 0xbf7ee86f, v85
	s_mov_b32 s1, 0x3dbcf732
	v_mul_f32_e32 v100, 0xbf1a4643, v80
	v_add_f32_e32 v21, v21, v43
	v_fma_f32 v43, v80, s1, -v39
	v_fmac_f32_e32 v39, 0x3dbcf732, v80
	v_mul_f32_e32 v101, 0xbf7ba420, v80
	v_add_f32_e32 v23, v23, v39
	v_add_f32_e32 v39, v100, v87
	v_mul_f32_e32 v102, 0xbf59a7d5, v80
	v_add_f32_e32 v27, v27, v39
	v_add_f32_e32 v39, v101, v88
	;; [unrolled: 3-line block ×3, first 2 shown]
	v_add_f32_e32 v31, v31, v39
	v_add_f32_e32 v39, v103, v90
	;; [unrolled: 1-line block ×3, first 2 shown]
	v_mul_f32_e32 v39, 0x3f65296c, v85
	s_mov_b32 s7, 0x3ee437d1
	v_add_f32_e32 v25, v25, v43
	v_fma_f32 v43, v80, s7, -v39
	v_fmac_f32_e32 v39, 0x3ee437d1, v80
	v_add_f32_e32 v35, v35, v39
	v_mul_f32_e32 v39, 0x3eb8f4ab, v85
	v_add_f32_e32 v37, v37, v43
	v_mov_b32_e32 v43, v39
	v_fma_f32 v39, v80, s0, -v39
	v_fmac_f32_e32 v43, 0x3f6eb680, v80
	v_add_f32_e32 v11, v11, v39
	v_mul_f32_e32 v39, 0xbf65296c, v78
	v_add_f32_e32 v41, v41, v43
	v_fma_f32 v43, v74, s7, -v39
	v_fmac_f32_e32 v39, 0x3ee437d1, v74
	v_add_f32_e32 v19, v19, v39
	v_mul_f32_e32 v39, 0xbf4c4adb, v78
	s_mov_b32 s10, 0xbf1a4643
	v_mul_f32_e32 v104, 0xbf7ba420, v74
	v_add_f32_e32 v21, v21, v43
	v_fma_f32 v43, v74, s10, -v39
	v_fmac_f32_e32 v39, 0xbf1a4643, v74
	v_mul_f32_e32 v105, 0xbe8c1d8e, v74
	v_add_f32_e32 v23, v23, v39
	v_add_f32_e32 v39, v104, v81
	v_mul_f32_e32 v106, 0x3f3d2fb0, v74
	v_add_f32_e32 v27, v27, v39
	v_add_f32_e32 v39, v105, v82
	;; [unrolled: 3-line block ×3, first 2 shown]
	v_add_f32_e32 v31, v31, v39
	v_add_f32_e32 v39, v107, v84
	;; [unrolled: 1-line block ×3, first 2 shown]
	v_mul_f32_e32 v39, 0xbf7ee86f, v78
	v_add_f32_e32 v25, v25, v43
	v_fma_f32 v43, v74, s1, -v39
	v_fmac_f32_e32 v39, 0x3dbcf732, v74
	v_add_f32_e32 v35, v35, v39
	v_mul_f32_e32 v39, 0xbf06c442, v78
	v_add_f32_e32 v37, v37, v43
	v_mov_b32_e32 v43, v39
	v_fma_f32 v39, v74, s6, -v39
	v_fmac_f32_e32 v43, 0xbf59a7d5, v74
	v_add_f32_e32 v11, v11, v39
	v_mul_f32_e32 v39, 0xbf7ee86f, v73
	v_add_f32_e32 v41, v41, v43
	v_fma_f32 v43, v68, s1, -v39
	v_fmac_f32_e32 v39, 0x3dbcf732, v68
	v_add_f32_e32 v19, v19, v39
	v_mul_f32_e32 v39, 0xbe3c28d5, v73
	v_mul_f32_e32 v108, 0xbe8c1d8e, v68
	v_add_f32_e32 v21, v21, v43
	v_fma_f32 v43, v68, s5, -v39
	v_fmac_f32_e32 v39, 0xbf7ba420, v68
	v_mul_f32_e32 v109, 0x3f6eb680, v68
	v_add_f32_e32 v23, v23, v39
	v_add_f32_e32 v39, v108, v75
	v_mul_f32_e32 v110, 0x3ee437d1, v68
	v_add_f32_e32 v27, v27, v39
	v_add_f32_e32 v39, v109, v76
	;; [unrolled: 3-line block ×3, first 2 shown]
	v_add_f32_e32 v31, v31, v39
	v_add_f32_e32 v39, v111, v79
	;; [unrolled: 1-line block ×3, first 2 shown]
	v_mul_f32_e32 v39, 0x3f4c4adb, v73
	v_add_f32_e32 v25, v25, v43
	v_fma_f32 v43, v68, s10, -v39
	v_fmac_f32_e32 v39, 0xbf1a4643, v68
	v_add_f32_e32 v35, v35, v39
	v_mul_f32_e32 v39, 0x3f2c7751, v73
	v_add_f32_e32 v37, v37, v43
	v_mov_b32_e32 v43, v39
	v_fma_f32 v39, v68, s4, -v39
	v_fmac_f32_e32 v43, 0x3f3d2fb0, v68
	v_add_f32_e32 v11, v11, v39
	v_mul_f32_e32 v39, 0xbf763a35, v66
	s_mov_b32 s11, 0xbe8c1d8e
	v_add_f32_e32 v41, v41, v43
	v_fma_f32 v43, v62, s11, -v39
	v_fmac_f32_e32 v39, 0xbe8c1d8e, v62
	v_add_f32_e32 v19, v19, v39
	v_mul_f32_e32 v39, 0x3f06c442, v66
	v_mul_f32_e32 v112, 0x3f3d2fb0, v62
	v_add_f32_e32 v21, v21, v43
	v_fma_f32 v43, v62, s6, -v39
	v_fmac_f32_e32 v39, 0xbf59a7d5, v62
	v_mul_f32_e32 v113, 0x3ee437d1, v62
	v_add_f32_e32 v23, v23, v39
	v_add_f32_e32 v39, v112, v69
	v_mul_f32_e32 v114, 0xbf7ba420, v62
	v_add_f32_e32 v27, v27, v39
	v_add_f32_e32 v39, v113, v70
	;; [unrolled: 3-line block ×3, first 2 shown]
	v_add_f32_e32 v31, v31, v39
	v_add_f32_e32 v39, v115, v72
	v_add_f32_e32 v33, v33, v39
	v_mul_f32_e32 v39, 0xbeb8f4ab, v66
	v_add_f32_e32 v25, v25, v43
	v_fma_f32 v43, v62, s0, -v39
	v_fmac_f32_e32 v39, 0x3f6eb680, v62
	v_add_f32_e32 v35, v35, v39
	v_mul_f32_e32 v39, 0xbf4c4adb, v66
	v_add_f32_e32 v37, v37, v43
	v_mov_b32_e32 v43, v39
	v_fma_f32 v39, v62, s10, -v39
	v_fmac_f32_e32 v43, 0xbf1a4643, v62
	v_add_f32_e32 v11, v11, v39
	v_mul_f32_e32 v39, 0xbf4c4adb, v60
	v_add_f32_e32 v41, v41, v43
	v_fma_f32 v43, v56, s10, -v39
	v_fmac_f32_e32 v39, 0xbf1a4643, v56
	v_add_f32_e32 v19, v19, v39
	v_mul_f32_e32 v39, 0x3f763a35, v60
	v_mul_f32_e32 v116, 0x3f6eb680, v56
	v_add_f32_e32 v21, v21, v43
	v_fma_f32 v43, v56, s11, -v39
	v_fmac_f32_e32 v39, 0xbe8c1d8e, v56
	v_mul_f32_e32 v117, 0xbf59a7d5, v56
	v_add_f32_e32 v23, v23, v39
	v_add_f32_e32 v39, v116, v63
	v_mul_f32_e32 v118, 0x3dbcf732, v56
	v_add_f32_e32 v27, v27, v39
	v_add_f32_e32 v39, v117, v64
	;; [unrolled: 3-line block ×3, first 2 shown]
	v_add_f32_e32 v31, v31, v39
	v_add_f32_e32 v39, v119, v67
	;; [unrolled: 1-line block ×3, first 2 shown]
	v_mul_f32_e32 v39, 0xbe3c28d5, v60
	v_add_f32_e32 v25, v25, v43
	v_fma_f32 v43, v56, s5, -v39
	v_fmac_f32_e32 v39, 0xbf7ba420, v56
	v_add_f32_e32 v35, v35, v39
	v_mul_f32_e32 v39, 0x3f65296c, v60
	v_add_f32_e32 v37, v37, v43
	v_mov_b32_e32 v43, v39
	v_fma_f32 v39, v56, s7, -v39
	v_fmac_f32_e32 v43, 0x3ee437d1, v56
	v_add_f32_e32 v11, v11, v39
	v_mul_f32_e32 v39, 0xbf06c442, v40
	v_add_f32_e32 v41, v41, v43
	v_fma_f32 v43, v28, s6, -v39
	v_fmac_f32_e32 v39, 0xbf59a7d5, v28
	v_add_f32_e32 v19, v19, v39
	v_mul_f32_e32 v39, 0x3f65296c, v40
	v_mul_f32_e32 v120, 0x3dbcf732, v28
	v_add_f32_e32 v21, v21, v43
	v_fma_f32 v43, v28, s7, -v39
	v_fmac_f32_e32 v39, 0x3ee437d1, v28
	v_mul_f32_e32 v121, 0xbf1a4643, v28
	v_add_f32_e32 v23, v23, v39
	v_add_f32_e32 v39, v120, v57
	v_mul_f32_e32 v122, 0x3f6eb680, v28
	v_add_f32_e32 v27, v27, v39
	v_add_f32_e32 v39, v121, v58
	;; [unrolled: 3-line block ×3, first 2 shown]
	v_add_f32_e32 v31, v31, v39
	v_add_f32_e32 v39, v123, v61
	v_add_f32_e32 v33, v33, v39
	v_mul_f32_e32 v39, 0x3f2c7751, v40
	v_add_f32_e32 v25, v25, v43
	v_fma_f32 v43, v28, s4, -v39
	v_fmac_f32_e32 v39, 0x3f3d2fb0, v28
	v_add_f32_e32 v35, v35, v39
	v_mul_f32_e32 v39, 0xbf763a35, v40
	v_mov_b32_e32 v40, v39
	v_fmac_f32_e32 v40, 0xbe8c1d8e, v28
	v_fma_f32 v28, v28, s11, -v39
	v_add_f32_e32 v11, v11, v28
	v_mul_f32_e32 v28, 0xbe3c28d5, v24
	v_mul_f32_e32 v15, 0xbf59a7d5, v22
	v_fma_f32 v39, v22, s5, -v28
	v_fmac_f32_e32 v28, 0xbf7ba420, v22
	v_mul_f32_e32 v124, 0x3f3d2fb0, v22
	v_add_f32_e32 v19, v19, v28
	v_mul_f32_e32 v28, 0x3eb8f4ab, v24
	v_add_f32_e32 v15, v15, v34
	;; [unrolled: 2-line block ×3, first 2 shown]
	v_fma_f32 v39, v22, s0, -v28
	v_fmac_f32_e32 v28, 0x3f6eb680, v22
	v_add_f32_e32 v15, v27, v15
	v_add_f32_e32 v27, v124, v36
	v_mul_f32_e32 v17, 0xbf1a4643, v22
	v_add_f32_e32 v23, v23, v28
	v_add_f32_e32 v27, v29, v27
	;; [unrolled: 1-line block ×3, first 2 shown]
	v_mul_f32_e32 v29, 0xbf763a35, v24
	v_mul_f32_e32 v24, 0x3f7ee86f, v24
	v_add_f32_e32 v17, v17, v38
	v_add_f32_e32 v28, v33, v28
	v_mov_b32_e32 v33, v24
	v_add_f32_e32 v17, v31, v17
	v_fma_f32 v31, v22, s11, -v29
	v_fmac_f32_e32 v29, 0xbe8c1d8e, v22
	v_fmac_f32_e32 v33, 0x3dbcf732, v22
	v_fma_f32 v22, v22, s1, -v24
	v_add_f32_e32 v11, v11, v22
	v_lshlrev_b32_e32 v22, 6, v54
	v_add_f32_e32 v37, v37, v43
	v_add_f32_e32 v40, v41, v40
	v_add3_u32 v22, v26, v22, v6
	v_add_f32_e32 v25, v25, v39
	v_add_f32_e32 v29, v35, v29
	;; [unrolled: 1-line block ×4, first 2 shown]
	ds_write2_b32 v22, v13, v19 offset1:1
	ds_write2_b32 v22, v23, v15 offset0:2 offset1:3
	ds_write2_b32 v22, v27, v17 offset0:4 offset1:5
	;; [unrolled: 1-line block ×7, first 2 shown]
	ds_write_b32 v22, v21 offset:64
.LBB0_14:
	s_or_b64 exec, exec, s[2:3]
	s_movk_i32 s0, 0xf1
	v_mul_lo_u16_sdwa v11, v54, s0 dst_sel:DWORD dst_unused:UNUSED_PAD src0_sel:BYTE_0 src1_sel:DWORD
	v_lshrrev_b16_e32 v15, 12, v11
	v_mul_lo_u16_e32 v11, 17, v15
	v_sub_u16_e32 v17, v54, v11
	v_mov_b32_e32 v11, 10
	v_mul_u32_u24_sdwa v11, v17, v11 dst_sel:DWORD dst_unused:UNUSED_PAD src0_sel:BYTE_0 src1_sel:DWORD
	v_lshlrev_b32_e32 v11, 3, v11
	s_waitcnt lgkmcnt(0)
	s_barrier
	global_load_dwordx4 v[39:42], v11, s[8:9]
	global_load_dwordx4 v[56:59], v11, s[8:9] offset:16
	global_load_dwordx4 v[60:63], v11, s[8:9] offset:32
	;; [unrolled: 1-line block ×4, first 2 shown]
	ds_read_b32 v26, v32
	ds_read2_b32 v[22:23], v12 offset0:85 offset1:170
	ds_read2_b32 v[13:14], v14 offset0:127 offset1:212
	;; [unrolled: 1-line block ×5, first 2 shown]
	s_mov_b32 s6, 0x3f575c64
	s_mov_b32 s4, 0x3ed4b147
	;; [unrolled: 1-line block ×5, first 2 shown]
	s_movk_i32 s0, 0x2ec
	v_mad_u32_u24 v15, v15, s0, 0
	s_waitcnt vmcnt(0) lgkmcnt(0)
	s_barrier
	v_cmp_gt_u32_e64 s[0:1], 17, v54
	v_mul_f32_e32 v27, v22, v40
	v_mul_f32_e32 v40, v52, v40
	;; [unrolled: 1-line block ×20, first 2 shown]
	v_fmac_f32_e32 v40, v22, v39
	v_fmac_f32_e32 v43, v20, v70
	v_fma_f32 v42, v52, v39, -v27
	v_fma_f32 v39, v53, v41, -v31
	v_fmac_f32_e32 v37, v23, v41
	v_fma_f32 v41, v44, v68, -v65
	v_fmac_f32_e32 v38, v19, v68
	v_fma_f32 v44, v45, v70, -v67
	v_sub_f32_e32 v19, v40, v43
	v_fmac_f32_e32 v24, v14, v58
	v_fmac_f32_e32 v21, v29, v62
	v_add_f32_e32 v14, v42, v44
	v_mul_f32_e32 v20, 0xbf0a6770, v19
	v_mul_f32_e32 v29, 0xbf68dda4, v19
	;; [unrolled: 1-line block ×5, first 2 shown]
	v_fma_f32 v35, v50, v56, -v35
	v_fma_f32 v27, v51, v58, -v36
	;; [unrolled: 1-line block ×3, first 2 shown]
	v_fmac_f32_e32 v11, v28, v60
	v_fma_f32 v23, v49, v62, -v59
	v_fma_f32 v28, v46, v64, -v61
	;; [unrolled: 1-line block ×4, first 2 shown]
	v_fmac_f32_e32 v20, 0x3f575c64, v14
	v_fma_f32 v47, v14, s4, -v29
	v_fmac_f32_e32 v29, 0x3ed4b147, v14
	v_fma_f32 v48, v14, s5, -v31
	;; [unrolled: 2-line block ×4, first 2 shown]
	v_fmac_f32_e32 v19, 0xbf75a155, v14
	v_fmac_f32_e32 v33, v13, v56
	v_add_f32_e32 v13, v2, v42
	v_add_f32_e32 v46, v2, v46
	;; [unrolled: 1-line block ×11, first 2 shown]
	v_sub_f32_e32 v19, v37, v38
	v_add_f32_e32 v14, v39, v41
	v_mul_f32_e32 v51, 0xbf68dda4, v19
	v_fma_f32 v52, v14, s4, -v51
	v_fmac_f32_e32 v51, 0x3ed4b147, v14
	v_add_f32_e32 v20, v51, v20
	v_mul_f32_e32 v51, 0xbf4178ce, v19
	v_add_f32_e32 v46, v52, v46
	v_fma_f32 v52, v14, s7, -v51
	v_fmac_f32_e32 v51, 0xbf27a4f4, v14
	v_add_f32_e32 v29, v51, v29
	v_mul_f32_e32 v51, 0x3e903f40, v19
	v_add_f32_e32 v47, v52, v47
	v_fma_f32 v52, v14, s10, -v51
	v_fmac_f32_e32 v51, 0xbf75a155, v14
	v_add_f32_e32 v31, v51, v31
	v_mul_f32_e32 v51, 0x3f7d64f0, v19
	v_add_f32_e32 v48, v52, v48
	v_fma_f32 v52, v14, s5, -v51
	v_fmac_f32_e32 v51, 0xbe11bafb, v14
	v_mul_f32_e32 v19, 0x3f0a6770, v19
	v_fmac_f32_e32 v34, v73, v66
	v_add_f32_e32 v45, v51, v45
	v_fma_f32 v51, v14, s6, -v19
	v_fmac_f32_e32 v19, 0x3f575c64, v14
	v_add_f32_e32 v2, v19, v2
	v_sub_f32_e32 v19, v33, v34
	v_add_f32_e32 v50, v51, v50
	v_add_f32_e32 v14, v35, v36
	v_mul_f32_e32 v51, 0xbf7d64f0, v19
	v_add_f32_e32 v49, v52, v49
	v_fma_f32 v52, v14, s5, -v51
	v_fmac_f32_e32 v51, 0xbe11bafb, v14
	v_add_f32_e32 v20, v51, v20
	v_mul_f32_e32 v51, 0x3e903f40, v19
	v_add_f32_e32 v46, v52, v46
	v_fma_f32 v52, v14, s10, -v51
	v_fmac_f32_e32 v51, 0xbf75a155, v14
	;; [unrolled: 5-line block ×4, first 2 shown]
	v_mul_f32_e32 v19, 0xbf4178ce, v19
	v_fmac_f32_e32 v25, v72, v64
	v_add_f32_e32 v45, v51, v45
	v_fma_f32 v51, v14, s7, -v19
	v_fmac_f32_e32 v19, 0xbf27a4f4, v14
	v_add_f32_e32 v2, v19, v2
	v_sub_f32_e32 v19, v24, v25
	v_add_f32_e32 v50, v51, v50
	v_add_f32_e32 v14, v27, v28
	v_mul_f32_e32 v51, 0xbf4178ce, v19
	v_add_f32_e32 v49, v52, v49
	v_fma_f32 v52, v14, s7, -v51
	v_fmac_f32_e32 v51, 0xbf27a4f4, v14
	v_add_f32_e32 v20, v51, v20
	v_mul_f32_e32 v51, 0x3f7d64f0, v19
	v_add_f32_e32 v46, v52, v46
	v_fma_f32 v52, v14, s5, -v51
	v_fmac_f32_e32 v51, 0xbe11bafb, v14
	;; [unrolled: 5-line block ×4, first 2 shown]
	v_mul_f32_e32 v19, 0x3f68dda4, v19
	v_add_f32_e32 v45, v51, v45
	v_fma_f32 v51, v14, s4, -v19
	v_add_f32_e32 v50, v51, v50
	v_fmac_f32_e32 v19, 0x3ed4b147, v14
	v_sub_f32_e32 v51, v11, v21
	v_add_f32_e32 v14, v19, v2
	v_add_f32_e32 v19, v22, v23
	v_mul_f32_e32 v2, 0xbe903f40, v51
	v_add_f32_e32 v49, v52, v49
	v_fma_f32 v52, v19, s10, -v2
	v_fmac_f32_e32 v2, 0xbf75a155, v19
	v_add_f32_e32 v2, v2, v20
	v_mul_f32_e32 v20, 0x3f0a6770, v51
	v_add_f32_e32 v13, v13, v39
	v_add_f32_e32 v46, v52, v46
	v_fma_f32 v52, v19, s6, -v20
	v_fmac_f32_e32 v20, 0x3f575c64, v19
	v_add_f32_e32 v13, v13, v35
	v_add_f32_e32 v20, v20, v29
	v_mul_f32_e32 v29, 0xbf4178ce, v51
	v_add_f32_e32 v13, v13, v27
	v_add_f32_e32 v47, v52, v47
	v_fma_f32 v52, v19, s7, -v29
	v_fmac_f32_e32 v29, 0xbf27a4f4, v19
	v_add_f32_e32 v13, v13, v22
	;; [unrolled: 7-line block ×3, first 2 shown]
	v_add_f32_e32 v31, v31, v45
	v_mul_f32_e32 v45, 0xbf7d64f0, v51
	v_add_f32_e32 v13, v13, v36
	v_fma_f32 v51, v19, s5, -v45
	v_fmac_f32_e32 v45, 0xbe11bafb, v19
	v_mov_b32_e32 v19, 2
	v_add_f32_e32 v13, v13, v41
	v_lshlrev_b32_sdwa v17, v19, v17 dst_sel:DWORD dst_unused:UNUSED_PAD src0_sel:DWORD src1_sel:BYTE_0
	v_add_f32_e32 v13, v13, v44
	v_add_f32_e32 v14, v45, v14
	v_add3_u32 v45, v15, v17, v6
	v_add_f32_e32 v49, v52, v49
	v_add_f32_e32 v50, v51, v50
	ds_write2_b32 v45, v13, v46 offset1:17
	ds_write2_b32 v45, v47, v48 offset0:34 offset1:51
	ds_write2_b32 v45, v49, v50 offset0:68 offset1:85
	;; [unrolled: 1-line block ×4, first 2 shown]
	ds_write_b32 v45, v2 offset:680
	v_add_u32_e32 v46, 0x600, v12
	s_waitcnt lgkmcnt(0)
	s_barrier
	ds_read2_b32 v[13:14], v12 offset0:85 offset1:187
	ds_read2_b32 v[17:18], v18 offset0:16 offset1:118
	;; [unrolled: 1-line block ×4, first 2 shown]
	ds_read_b32 v29, v32
	ds_read_b32 v31, v12 offset:3332
	s_and_saveexec_b64 s[2:3], s[0:1]
	s_cbranch_execz .LBB0_16
; %bb.15:
	v_add_u32_e32 v2, 0x200, v12
	v_add_u32_e32 v4, 0x800, v12
	ds_read2_b32 v[2:3], v2 offset0:42 offset1:229
	ds_read2_b32 v[4:5], v4 offset0:32 offset1:219
	ds_read_b32 v55, v12 offset:3672
.LBB0_16:
	s_or_b64 exec, exec, s[2:3]
	v_add_f32_e32 v6, v26, v40
	v_add_f32_e32 v6, v6, v37
	;; [unrolled: 1-line block ×11, first 2 shown]
	v_sub_f32_e32 v40, v42, v44
	v_mul_f32_e32 v42, 0xbf0a6770, v40
	v_mul_f32_e32 v44, 0xbf68dda4, v40
	;; [unrolled: 1-line block ×5, first 2 shown]
	v_mov_b32_e32 v43, v42
	v_mov_b32_e32 v48, v44
	;; [unrolled: 1-line block ×5, first 2 shown]
	v_fmac_f32_e32 v43, 0x3f575c64, v6
	v_fma_f32 v42, v6, s6, -v42
	v_fmac_f32_e32 v48, 0x3ed4b147, v6
	v_fma_f32 v44, v6, s4, -v44
	;; [unrolled: 2-line block ×5, first 2 shown]
	v_add_f32_e32 v43, v26, v43
	v_add_f32_e32 v42, v26, v42
	;; [unrolled: 1-line block ×11, first 2 shown]
	v_sub_f32_e32 v37, v39, v41
	v_mul_f32_e32 v38, 0xbf68dda4, v37
	v_mov_b32_e32 v39, v38
	v_fma_f32 v38, v26, s4, -v38
	v_mul_f32_e32 v40, 0xbf4178ce, v37
	v_fmac_f32_e32 v39, 0x3ed4b147, v26
	v_add_f32_e32 v38, v38, v42
	v_mov_b32_e32 v41, v40
	v_fma_f32 v40, v26, s7, -v40
	v_mul_f32_e32 v42, 0x3e903f40, v37
	v_add_f32_e32 v39, v39, v43
	v_fmac_f32_e32 v41, 0xbf27a4f4, v26
	v_add_f32_e32 v40, v40, v44
	v_mov_b32_e32 v43, v42
	v_fma_f32 v42, v26, s10, -v42
	v_mul_f32_e32 v44, 0x3f7d64f0, v37
	v_mul_f32_e32 v37, 0x3f0a6770, v37
	v_add_f32_e32 v41, v41, v48
	v_add_f32_e32 v42, v42, v49
	v_mov_b32_e32 v48, v44
	v_mov_b32_e32 v49, v37
	v_fmac_f32_e32 v43, 0xbf75a155, v26
	v_fmac_f32_e32 v48, 0xbe11bafb, v26
	v_fma_f32 v44, v26, s5, -v44
	v_fmac_f32_e32 v49, 0x3f575c64, v26
	v_fma_f32 v26, v26, s6, -v37
	v_add_f32_e32 v6, v26, v6
	v_add_f32_e32 v26, v33, v34
	v_sub_f32_e32 v33, v35, v36
	v_mul_f32_e32 v34, 0xbf7d64f0, v33
	v_mov_b32_e32 v35, v34
	v_fma_f32 v34, v26, s5, -v34
	v_mul_f32_e32 v36, 0x3e903f40, v33
	v_fmac_f32_e32 v35, 0xbe11bafb, v26
	v_add_f32_e32 v34, v34, v38
	v_mov_b32_e32 v37, v36
	v_fma_f32 v36, v26, s10, -v36
	v_mul_f32_e32 v38, 0x3f68dda4, v33
	v_add_f32_e32 v35, v35, v39
	v_fmac_f32_e32 v37, 0xbf75a155, v26
	v_add_f32_e32 v36, v36, v40
	v_mov_b32_e32 v39, v38
	v_fma_f32 v38, v26, s4, -v38
	v_mul_f32_e32 v40, 0xbf0a6770, v33
	v_mul_f32_e32 v33, 0xbf4178ce, v33
	v_add_f32_e32 v37, v37, v41
	v_add_f32_e32 v38, v38, v42
	v_mov_b32_e32 v41, v40
	v_mov_b32_e32 v42, v33
	v_fmac_f32_e32 v39, 0x3ed4b147, v26
	v_fmac_f32_e32 v41, 0x3f575c64, v26
	v_fma_f32 v40, v26, s6, -v40
	v_fmac_f32_e32 v42, 0xbf27a4f4, v26
	v_fma_f32 v26, v26, s7, -v33
	v_add_f32_e32 v24, v24, v25
	v_sub_f32_e32 v25, v27, v28
	v_add_f32_e32 v6, v26, v6
	v_mul_f32_e32 v26, 0xbf4178ce, v25
	v_mov_b32_e32 v27, v26
	v_fma_f32 v26, v24, s7, -v26
	v_mul_f32_e32 v28, 0x3f7d64f0, v25
	v_fmac_f32_e32 v27, 0xbf27a4f4, v24
	v_add_f32_e32 v26, v26, v34
	v_mov_b32_e32 v33, v28
	v_fma_f32 v28, v24, s5, -v28
	v_mul_f32_e32 v34, 0xbf0a6770, v25
	v_add_f32_e32 v27, v27, v35
	v_fmac_f32_e32 v33, 0xbe11bafb, v24
	v_add_f32_e32 v28, v28, v36
	v_mov_b32_e32 v35, v34
	v_fma_f32 v34, v24, s6, -v34
	v_mul_f32_e32 v36, 0xbe903f40, v25
	v_mul_f32_e32 v25, 0x3f68dda4, v25
	v_add_f32_e32 v33, v33, v37
	v_add_f32_e32 v34, v34, v38
	v_mov_b32_e32 v37, v36
	v_mov_b32_e32 v38, v25
	v_fmac_f32_e32 v35, 0x3f575c64, v24
	v_fmac_f32_e32 v37, 0xbf75a155, v24
	v_fma_f32 v36, v24, s10, -v36
	v_fmac_f32_e32 v38, 0x3ed4b147, v24
	v_fma_f32 v24, v24, s4, -v25
	v_add_f32_e32 v11, v11, v21
	v_sub_f32_e32 v21, v22, v23
	v_add_f32_e32 v24, v24, v6
	v_mul_f32_e32 v6, 0xbe903f40, v21
	v_mov_b32_e32 v22, v6
	v_fma_f32 v6, v11, s10, -v6
	v_mul_f32_e32 v23, 0x3f0a6770, v21
	v_fmac_f32_e32 v22, 0xbf75a155, v11
	v_add_f32_e32 v6, v6, v26
	v_mov_b32_e32 v25, v23
	v_fma_f32 v23, v11, s6, -v23
	v_mul_f32_e32 v26, 0xbf4178ce, v21
	v_add_f32_e32 v22, v22, v27
	v_fmac_f32_e32 v25, 0x3f575c64, v11
	v_add_f32_e32 v23, v23, v28
	v_mov_b32_e32 v27, v26
	v_fma_f32 v26, v11, s7, -v26
	v_mul_f32_e32 v28, 0x3f68dda4, v21
	v_mul_f32_e32 v21, 0xbf7d64f0, v21
	v_add_f32_e32 v43, v43, v50
	v_add_f32_e32 v48, v48, v52
	;; [unrolled: 1-line block ×6, first 2 shown]
	v_mov_b32_e32 v33, v28
	v_mov_b32_e32 v34, v21
	v_add_f32_e32 v39, v39, v43
	v_add_f32_e32 v41, v41, v48
	;; [unrolled: 1-line block ×4, first 2 shown]
	v_fmac_f32_e32 v27, 0xbf27a4f4, v11
	v_fmac_f32_e32 v33, 0x3ed4b147, v11
	v_fma_f32 v28, v11, s4, -v28
	v_fmac_f32_e32 v34, 0xbe11bafb, v11
	v_fma_f32 v11, v11, s5, -v21
	v_add_f32_e32 v35, v35, v39
	v_add_f32_e32 v37, v37, v41
	;; [unrolled: 1-line block ×9, first 2 shown]
	s_waitcnt lgkmcnt(0)
	s_barrier
	ds_write2_b32 v45, v47, v22 offset1:17
	ds_write2_b32 v45, v25, v27 offset0:34 offset1:51
	ds_write2_b32 v45, v33, v34 offset0:68 offset1:85
	;; [unrolled: 1-line block ×4, first 2 shown]
	ds_write_b32 v45, v6 offset:680
	v_add_u32_e32 v11, 0x400, v12
	s_waitcnt lgkmcnt(0)
	s_barrier
	ds_read2_b32 v[21:22], v12 offset0:85 offset1:187
	ds_read2_b32 v[27:28], v11 offset0:16 offset1:118
	;; [unrolled: 1-line block ×3, first 2 shown]
	v_add_u32_e32 v11, 0x800, v12
	ds_read2_b32 v[23:24], v11 offset0:134 offset1:236
	ds_read_b32 v32, v32
	ds_read_b32 v33, v12 offset:3332
	s_and_saveexec_b64 s[2:3], s[0:1]
	s_cbranch_execz .LBB0_18
; %bb.17:
	v_add_u32_e32 v6, 0x200, v12
	ds_read2_b32 v[6:7], v6 offset0:42 offset1:229
	ds_read2_b32 v[8:9], v11 offset0:32 offset1:219
	ds_read_b32 v30, v12 offset:3672
.LBB0_18:
	s_or_b64 exec, exec, s[2:3]
	s_and_saveexec_b64 s[2:3], vcc
	s_cbranch_execz .LBB0_21
; %bb.19:
	v_add_u32_e32 v50, 0x55, v54
	v_lshlrev_b32_e32 v11, 2, v50
	v_mov_b32_e32 v12, 0
	v_lshlrev_b64 v[34:35], 3, v[11:12]
	v_mov_b32_e32 v44, s9
	v_add_co_u32_e32 v42, vcc, s8, v34
	v_addc_co_u32_e32 v43, vcc, v44, v35, vcc
	global_load_dwordx4 v[34:37], v[42:43], off offset:1360
	global_load_dwordx4 v[38:41], v[42:43], off offset:1376
	v_mov_b32_e32 v11, v12
	v_lshlrev_b64 v[10:11], 3, v[10:11]
	s_movk_i32 s4, 0x2ec
	v_add_co_u32_e32 v10, vcc, s8, v10
	v_addc_co_u32_e32 v11, vcc, v44, v11, vcc
	global_load_dwordx4 v[42:45], v[10:11], off offset:1360
	global_load_dwordx4 v[46:49], v[10:11], off offset:1376
	v_add_co_u32_e32 v0, vcc, s14, v0
	s_waitcnt vmcnt(3)
	v_mul_f32_e32 v51, v19, v37
	v_mul_f32_e32 v10, v17, v35
	s_waitcnt vmcnt(2)
	v_mul_f32_e32 v52, v15, v39
	v_mul_f32_e32 v53, v31, v41
	s_waitcnt lgkmcnt(4)
	v_mul_f32_e32 v11, v27, v35
	s_waitcnt lgkmcnt(0)
	v_mul_f32_e32 v35, v33, v41
	v_mul_f32_e32 v37, v25, v37
	;; [unrolled: 1-line block ×3, first 2 shown]
	v_fmac_f32_e32 v51, v25, v36
	v_fmac_f32_e32 v10, v27, v34
	;; [unrolled: 1-line block ×4, first 2 shown]
	v_fma_f32 v11, v17, v34, -v11
	v_fma_f32 v17, v31, v40, -v35
	;; [unrolled: 1-line block ×4, first 2 shown]
	v_sub_f32_e32 v23, v51, v10
	v_sub_f32_e32 v25, v52, v53
	v_add_f32_e32 v31, v10, v53
	v_sub_f32_e32 v33, v19, v11
	v_sub_f32_e32 v34, v15, v17
	v_add_f32_e32 v35, v11, v17
	v_add_f32_e32 v58, v19, v15
	v_sub_f32_e32 v27, v11, v17
	v_sub_f32_e32 v57, v10, v53
	;; [unrolled: 1-line block ×5, first 2 shown]
	v_add_f32_e32 v59, v21, v10
	v_add_f32_e32 v60, v13, v11
	;; [unrolled: 1-line block ×3, first 2 shown]
	v_fma_f32 v11, -0.5, v31, v21
	v_add_f32_e32 v25, v33, v34
	v_fma_f32 v10, -0.5, v35, v13
	v_fma_f32 v33, -0.5, v58, v13
	v_sub_f32_e32 v41, v19, v15
	v_sub_f32_e32 v56, v51, v52
	v_add_f32_e32 v38, v51, v52
	v_add_f32_e32 v31, v36, v37
	v_mov_b32_e32 v36, v11
	v_mov_b32_e32 v35, v10
	;; [unrolled: 1-line block ×3, first 2 shown]
	v_sub_f32_e32 v40, v17, v15
	v_fma_f32 v34, -0.5, v38, v21
	v_fmac_f32_e32 v11, 0x3f737871, v41
	v_fmac_f32_e32 v10, 0xbf737871, v56
	;; [unrolled: 1-line block ×6, first 2 shown]
	v_add_f32_e32 v21, v39, v40
	v_mov_b32_e32 v38, v34
	v_fmac_f32_e32 v11, 0xbf167918, v27
	v_fmac_f32_e32 v10, 0x3f167918, v57
	;; [unrolled: 1-line block ×6, first 2 shown]
	v_add_f32_e32 v13, v51, v59
	v_add_f32_e32 v19, v19, v60
	v_fmac_f32_e32 v34, 0x3f737871, v27
	v_fmac_f32_e32 v38, 0xbf737871, v27
	;; [unrolled: 1-line block ×8, first 2 shown]
	s_waitcnt vmcnt(1)
	v_mul_f32_e32 v21, v14, v43
	v_mul_f32_e32 v23, v18, v45
	s_waitcnt vmcnt(0)
	v_mul_f32_e32 v25, v16, v49
	v_mul_f32_e32 v27, v20, v47
	v_add_f32_e32 v13, v52, v13
	v_add_f32_e32 v15, v19, v15
	v_fmac_f32_e32 v21, v22, v42
	v_fmac_f32_e32 v23, v28, v44
	;; [unrolled: 1-line block ×4, first 2 shown]
	v_add_f32_e32 v40, v13, v53
	v_add_f32_e32 v39, v15, v17
	v_fmac_f32_e32 v34, 0x3f167918, v41
	v_fmac_f32_e32 v38, 0xbf167918, v41
	v_sub_f32_e32 v13, v21, v23
	v_sub_f32_e32 v15, v25, v27
	v_fmac_f32_e32 v34, 0x3e9e377a, v31
	v_fmac_f32_e32 v38, 0x3e9e377a, v31
	v_add_f32_e32 v31, v13, v15
	v_mul_f32_e32 v13, v28, v45
	v_fma_f32 v28, v18, v44, -v13
	v_mul_f32_e32 v13, v26, v47
	v_fma_f32 v26, v20, v46, -v13
	v_mul_f32_e32 v13, v22, v43
	v_sub_f32_e32 v17, v23, v21
	v_sub_f32_e32 v18, v27, v25
	v_fma_f32 v42, v14, v42, -v13
	v_mul_f32_e32 v13, v24, v49
	v_add_f32_e32 v46, v17, v18
	v_add_f32_e32 v17, v21, v25
	v_fma_f32 v43, v16, v48, -v13
	v_add_f32_e32 v13, v23, v27
	v_fma_f32 v18, -0.5, v17, v32
	v_sub_f32_e32 v41, v28, v26
	v_fma_f32 v14, -0.5, v13, v32
	v_sub_f32_e32 v13, v42, v28
	v_sub_f32_e32 v15, v43, v26
	v_mov_b32_e32 v20, v18
	v_sub_f32_e32 v22, v42, v43
	v_mov_b32_e32 v16, v14
	v_add_f32_e32 v24, v13, v15
	v_add_f32_e32 v13, v28, v26
	v_sub_f32_e32 v44, v21, v25
	v_fmac_f32_e32 v20, 0xbf737871, v41
	v_fmac_f32_e32 v18, 0x3f737871, v41
	v_add_f32_e32 v21, v32, v21
	v_fmac_f32_e32 v16, 0x3f737871, v22
	v_fma_f32 v13, -0.5, v13, v29
	v_sub_f32_e32 v45, v23, v27
	v_fmac_f32_e32 v20, 0x3f167918, v22
	v_fmac_f32_e32 v18, 0xbf167918, v22
	;; [unrolled: 1-line block ×3, first 2 shown]
	v_add_f32_e32 v23, v21, v23
	v_mad_u64_u32 v[21:22], s[2:3], s12, v54, 0
	v_mov_b32_e32 v15, v13
	v_fmac_f32_e32 v15, 0xbf737871, v44
	v_fmac_f32_e32 v13, 0x3f737871, v44
	;; [unrolled: 1-line block ×4, first 2 shown]
	v_add_f32_e32 v23, v23, v27
	v_fmac_f32_e32 v15, 0x3e9e377a, v24
	v_fmac_f32_e32 v13, 0x3e9e377a, v24
	v_add_f32_e32 v24, v25, v23
	v_add_f32_e32 v25, v29, v42
	v_mad_u64_u32 v[22:23], s[2:3], s13, v54, v[22:23]
	v_sub_f32_e32 v17, v28, v42
	v_add_f32_e32 v23, v25, v28
	v_add_u32_e32 v28, 0xbb, v54
	v_sub_f32_e32 v19, v26, v43
	v_add_f32_e32 v23, v23, v26
	v_mad_u64_u32 v[25:26], s[2:3], s12, v28, 0
	v_mov_b32_e32 v27, s15
	v_addc_co_u32_e32 v1, vcc, v27, v1, vcc
	v_lshlrev_b64 v[21:22], 3, v[21:22]
	v_mad_u64_u32 v[26:27], s[2:3], s13, v28, v[26:27]
	v_add_co_u32_e32 v21, vcc, v0, v21
	v_add_f32_e32 v23, v43, v23
	v_addc_co_u32_e32 v22, vcc, v1, v22, vcc
	global_store_dwordx2 v[21:22], v[23:24], off
	v_lshlrev_b64 v[21:22], 3, v[25:26]
	v_add_u32_e32 v25, 0x176, v54
	v_mad_u64_u32 v[23:24], s[2:3], s12, v25, 0
	v_add_u32_e32 v27, 0x231, v54
	v_fmac_f32_e32 v14, 0xbf167918, v41
	v_mad_u64_u32 v[24:25], s[2:3], s13, v25, v[24:25]
	v_mad_u64_u32 v[25:26], s[2:3], s12, v27, 0
	v_add_co_u32_e32 v21, vcc, v0, v21
	v_fmac_f32_e32 v14, 0x3e9e377a, v31
	v_addc_co_u32_e32 v22, vcc, v1, v22, vcc
	global_store_dwordx2 v[21:22], v[13:14], off
	v_mov_b32_e32 v21, v26
	v_add_f32_e32 v47, v17, v19
	v_add_f32_e32 v17, v42, v43
	v_mad_u64_u32 v[21:22], s[2:3], s13, v27, v[21:22]
	v_fma_f32 v17, -0.5, v17, v29
	v_lshlrev_b64 v[13:14], 3, v[23:24]
	v_mov_b32_e32 v19, v17
	v_fmac_f32_e32 v17, 0xbf737871, v45
	v_fmac_f32_e32 v17, 0x3f167918, v44
	v_add_co_u32_e32 v13, vcc, v0, v13
	v_fmac_f32_e32 v18, 0x3e9e377a, v46
	v_fmac_f32_e32 v17, 0x3e9e377a, v47
	v_addc_co_u32_e32 v14, vcc, v1, v14, vcc
	v_mov_b32_e32 v26, v21
	v_add_u32_e32 v21, 0x2ec, v54
	global_store_dwordx2 v[13:14], v[17:18], off
	v_mad_u64_u32 v[17:18], s[2:3], s12, v21, 0
	s_mov_b32 s2, 0xaf3addc7
	v_mul_hi_u32 v23, v50, s2
	v_fmac_f32_e32 v19, 0x3f737871, v45
	v_fmac_f32_e32 v19, 0xbf167918, v44
	v_fmac_f32_e32 v19, 0x3e9e377a, v47
	v_mad_u64_u32 v[21:22], s[2:3], s13, v21, v[18:19]
	v_lshrrev_b32_e32 v18, 7, v23
	v_mad_u32_u24 v24, v18, s4, v50
	v_lshlrev_b64 v[13:14], 3, v[25:26]
	v_mad_u64_u32 v[22:23], s[2:3], s12, v24, 0
	v_add_co_u32_e32 v13, vcc, v0, v13
	v_fmac_f32_e32 v20, 0x3e9e377a, v46
	v_addc_co_u32_e32 v14, vcc, v1, v14, vcc
	v_mov_b32_e32 v18, v21
	global_store_dwordx2 v[13:14], v[19:20], off
	v_lshlrev_b64 v[13:14], 3, v[17:18]
	v_mov_b32_e32 v17, v23
	v_mad_u64_u32 v[17:18], s[2:3], s13, v24, v[17:18]
	v_fmac_f32_e32 v16, 0x3f167918, v41
	v_add_co_u32_e32 v13, vcc, v0, v13
	v_fmac_f32_e32 v16, 0x3e9e377a, v31
	v_addc_co_u32_e32 v14, vcc, v1, v14, vcc
	v_mov_b32_e32 v23, v17
	v_add_u32_e32 v17, 0xbb, v24
	global_store_dwordx2 v[13:14], v[15:16], off
	v_mad_u64_u32 v[15:16], s[2:3], s12, v17, 0
	v_add_u32_e32 v19, 0x176, v24
	v_lshlrev_b64 v[13:14], 3, v[22:23]
	v_mad_u64_u32 v[16:17], s[2:3], s13, v17, v[16:17]
	v_mad_u64_u32 v[17:18], s[2:3], s12, v19, 0
	v_add_co_u32_e32 v13, vcc, v0, v13
	v_addc_co_u32_e32 v14, vcc, v1, v14, vcc
	global_store_dwordx2 v[13:14], v[39:40], off
	v_lshlrev_b64 v[13:14], 3, v[15:16]
	v_mov_b32_e32 v15, v18
	v_mad_u64_u32 v[15:16], s[2:3], s13, v19, v[15:16]
	v_add_co_u32_e32 v13, vcc, v0, v13
	v_addc_co_u32_e32 v14, vcc, v1, v14, vcc
	v_mov_b32_e32 v18, v15
	global_store_dwordx2 v[13:14], v[37:38], off
	v_lshlrev_b64 v[13:14], 3, v[17:18]
	v_add_u32_e32 v17, 0x231, v24
	v_mad_u64_u32 v[15:16], s[2:3], s12, v17, 0
	v_add_u32_e32 v19, 0x2ec, v24
	v_add_co_u32_e32 v13, vcc, v0, v13
	v_mad_u64_u32 v[16:17], s[2:3], s13, v17, v[16:17]
	v_mad_u64_u32 v[17:18], s[2:3], s12, v19, 0
	v_addc_co_u32_e32 v14, vcc, v1, v14, vcc
	global_store_dwordx2 v[13:14], v[10:11], off
	v_mov_b32_e32 v13, v18
	v_mad_u64_u32 v[13:14], s[2:3], s13, v19, v[13:14]
	v_lshlrev_b64 v[10:11], 3, v[15:16]
	v_add_co_u32_e32 v10, vcc, v0, v10
	v_addc_co_u32_e32 v11, vcc, v1, v11, vcc
	v_mov_b32_e32 v18, v13
	global_store_dwordx2 v[10:11], v[35:36], off
	v_lshlrev_b64 v[10:11], 3, v[17:18]
	v_add_co_u32_e32 v10, vcc, v0, v10
	v_addc_co_u32_e32 v11, vcc, v1, v11, vcc
	global_store_dwordx2 v[10:11], v[33:34], off
	s_and_b64 exec, exec, s[0:1]
	s_cbranch_execz .LBB0_21
; %bb.20:
	v_add_u32_e32 v20, 0xaa, v54
	v_subrev_u32_e32 v10, 17, v54
	v_cndmask_b32_e64 v10, v10, v20, s[0:1]
	v_lshlrev_b32_e32 v11, 2, v10
	v_lshlrev_b64 v[10:11], 3, v[11:12]
	v_mov_b32_e32 v12, s9
	v_add_co_u32_e32 v18, vcc, s8, v10
	v_addc_co_u32_e32 v19, vcc, v12, v11, vcc
	global_load_dwordx4 v[10:13], v[18:19], off offset:1360
	global_load_dwordx4 v[14:17], v[18:19], off offset:1376
	v_mad_u64_u32 v[18:19], s[0:1], s12, v20, 0
	v_mad_u64_u32 v[19:20], s[0:1], s13, v20, v[19:20]
	s_waitcnt vmcnt(1)
	v_mul_f32_e32 v20, v7, v11
	v_mul_f32_e32 v11, v3, v11
	;; [unrolled: 1-line block ×3, first 2 shown]
	s_waitcnt vmcnt(0)
	v_mul_f32_e32 v22, v9, v15
	v_mul_f32_e32 v13, v4, v13
	;; [unrolled: 1-line block ×5, first 2 shown]
	v_fma_f32 v3, v3, v10, -v20
	v_fmac_f32_e32 v11, v7, v10
	v_fma_f32 v4, v4, v12, -v21
	v_fma_f32 v7, v5, v14, -v22
	v_fmac_f32_e32 v13, v8, v12
	v_fmac_f32_e32 v15, v9, v14
	v_fma_f32 v12, v55, v16, -v23
	v_fmac_f32_e32 v17, v30, v16
	v_add_f32_e32 v5, v2, v3
	v_add_f32_e32 v8, v4, v7
	;; [unrolled: 1-line block ×3, first 2 shown]
	v_sub_f32_e32 v14, v11, v17
	v_sub_f32_e32 v9, v3, v4
	v_add_f32_e32 v20, v3, v12
	v_sub_f32_e32 v21, v4, v3
	v_sub_f32_e32 v22, v7, v12
	;; [unrolled: 1-line block ×4, first 2 shown]
	v_add_f32_e32 v28, v11, v17
	v_sub_f32_e32 v11, v13, v11
	v_sub_f32_e32 v29, v15, v17
	v_add_f32_e32 v30, v5, v4
	v_fma_f32 v4, -0.5, v8, v2
	v_add_f32_e32 v8, v23, v13
	v_sub_f32_e32 v16, v13, v15
	v_sub_f32_e32 v10, v12, v7
	v_add_f32_e32 v24, v13, v15
	v_sub_f32_e32 v27, v17, v15
	v_fmac_f32_e32 v2, -0.5, v20
	v_add_f32_e32 v20, v21, v22
	v_add_f32_e32 v21, v11, v29
	;; [unrolled: 1-line block ×3, first 2 shown]
	v_mov_b32_e32 v7, v4
	v_add_f32_e32 v15, v8, v15
	v_sub_f32_e32 v3, v3, v12
	v_add_f32_e32 v31, v9, v10
	v_fmac_f32_e32 v4, 0xbf737871, v14
	v_mov_b32_e32 v9, v2
	v_add_f32_e32 v11, v11, v12
	v_fmac_f32_e32 v7, 0x3f737871, v14
	v_add_f32_e32 v12, v15, v17
	v_add_u32_e32 v17, 0x165, v54
	v_fmac_f32_e32 v2, 0x3f737871, v16
	v_fmac_f32_e32 v4, 0xbf167918, v16
	v_fmac_f32_e32 v9, 0xbf737871, v16
	v_fmac_f32_e32 v7, 0x3f167918, v16
	v_mad_u64_u32 v[15:16], s[0:1], s12, v17, 0
	v_fma_f32 v5, -0.5, v24, v6
	v_fmac_f32_e32 v6, -0.5, v28
	v_mov_b32_e32 v8, v5
	v_mov_b32_e32 v10, v6
	v_fmac_f32_e32 v5, 0x3f737871, v3
	v_fmac_f32_e32 v6, 0xbf737871, v25
	;; [unrolled: 1-line block ×4, first 2 shown]
	v_add_f32_e32 v13, v26, v27
	v_fmac_f32_e32 v5, 0x3f167918, v25
	v_fmac_f32_e32 v6, 0x3f167918, v3
	;; [unrolled: 1-line block ×5, first 2 shown]
	v_mov_b32_e32 v3, v16
	v_fmac_f32_e32 v2, 0xbf167918, v14
	v_fmac_f32_e32 v9, 0x3f167918, v14
	;; [unrolled: 1-line block ×4, first 2 shown]
	v_lshlrev_b64 v[13:14], 3, v[18:19]
	v_mad_u64_u32 v[16:17], s[0:1], s13, v17, v[3:4]
	v_or_b32_e32 v19, 0x220, v54
	v_mad_u64_u32 v[17:18], s[0:1], s12, v19, 0
	v_add_co_u32_e32 v13, vcc, v0, v13
	v_addc_co_u32_e32 v14, vcc, v1, v14, vcc
	v_mov_b32_e32 v3, v18
	global_store_dwordx2 v[13:14], v[11:12], off
	v_mad_u64_u32 v[13:14], s[0:1], s13, v19, v[3:4]
	v_lshlrev_b64 v[11:12], 3, v[15:16]
	v_fmac_f32_e32 v7, 0x3e9e377a, v31
	v_add_co_u32_e32 v11, vcc, v0, v11
	v_addc_co_u32_e32 v12, vcc, v1, v12, vcc
	v_mov_b32_e32 v18, v13
	v_add_u32_e32 v13, 0x2db, v54
	global_store_dwordx2 v[11:12], v[7:8], off
	v_mad_u64_u32 v[11:12], s[0:1], s12, v13, 0
	v_add_u32_e32 v15, 0x396, v54
	v_lshlrev_b64 v[7:8], 3, v[17:18]
	v_mov_b32_e32 v3, v12
	v_mad_u64_u32 v[12:13], s[0:1], s13, v13, v[3:4]
	v_mad_u64_u32 v[13:14], s[0:1], s12, v15, 0
	v_add_co_u32_e32 v7, vcc, v0, v7
	v_fmac_f32_e32 v9, 0x3e9e377a, v20
	v_fmac_f32_e32 v10, 0x3e9e377a, v21
	v_addc_co_u32_e32 v8, vcc, v1, v8, vcc
	v_mov_b32_e32 v3, v14
	global_store_dwordx2 v[7:8], v[9:10], off
	v_mad_u64_u32 v[9:10], s[0:1], s13, v15, v[3:4]
	v_lshlrev_b64 v[7:8], 3, v[11:12]
	v_fmac_f32_e32 v6, 0x3e9e377a, v21
	v_add_co_u32_e32 v7, vcc, v0, v7
	v_fmac_f32_e32 v2, 0x3e9e377a, v20
	v_addc_co_u32_e32 v8, vcc, v1, v8, vcc
	v_mov_b32_e32 v3, v6
	v_mov_b32_e32 v14, v9
	global_store_dwordx2 v[7:8], v[2:3], off
	v_lshlrev_b64 v[2:3], 3, v[13:14]
	v_add_co_u32_e32 v0, vcc, v0, v2
	v_addc_co_u32_e32 v1, vcc, v1, v3, vcc
	global_store_dwordx2 v[0:1], v[4:5], off
.LBB0_21:
	s_endpgm
	.section	.rodata,"a",@progbits
	.p2align	6, 0x0
	.amdhsa_kernel fft_rtc_fwd_len935_factors_17_11_5_wgs_255_tpt_85_halfLds_sp_ip_CI_sbrr_dirReg
		.amdhsa_group_segment_fixed_size 0
		.amdhsa_private_segment_fixed_size 0
		.amdhsa_kernarg_size 88
		.amdhsa_user_sgpr_count 6
		.amdhsa_user_sgpr_private_segment_buffer 1
		.amdhsa_user_sgpr_dispatch_ptr 0
		.amdhsa_user_sgpr_queue_ptr 0
		.amdhsa_user_sgpr_kernarg_segment_ptr 1
		.amdhsa_user_sgpr_dispatch_id 0
		.amdhsa_user_sgpr_flat_scratch_init 0
		.amdhsa_user_sgpr_private_segment_size 0
		.amdhsa_uses_dynamic_stack 0
		.amdhsa_system_sgpr_private_segment_wavefront_offset 0
		.amdhsa_system_sgpr_workgroup_id_x 1
		.amdhsa_system_sgpr_workgroup_id_y 0
		.amdhsa_system_sgpr_workgroup_id_z 0
		.amdhsa_system_sgpr_workgroup_info 0
		.amdhsa_system_vgpr_workitem_id 0
		.amdhsa_next_free_vgpr 126
		.amdhsa_next_free_sgpr 24
		.amdhsa_reserve_vcc 1
		.amdhsa_reserve_flat_scratch 0
		.amdhsa_float_round_mode_32 0
		.amdhsa_float_round_mode_16_64 0
		.amdhsa_float_denorm_mode_32 3
		.amdhsa_float_denorm_mode_16_64 3
		.amdhsa_dx10_clamp 1
		.amdhsa_ieee_mode 1
		.amdhsa_fp16_overflow 0
		.amdhsa_exception_fp_ieee_invalid_op 0
		.amdhsa_exception_fp_denorm_src 0
		.amdhsa_exception_fp_ieee_div_zero 0
		.amdhsa_exception_fp_ieee_overflow 0
		.amdhsa_exception_fp_ieee_underflow 0
		.amdhsa_exception_fp_ieee_inexact 0
		.amdhsa_exception_int_div_zero 0
	.end_amdhsa_kernel
	.text
.Lfunc_end0:
	.size	fft_rtc_fwd_len935_factors_17_11_5_wgs_255_tpt_85_halfLds_sp_ip_CI_sbrr_dirReg, .Lfunc_end0-fft_rtc_fwd_len935_factors_17_11_5_wgs_255_tpt_85_halfLds_sp_ip_CI_sbrr_dirReg
                                        ; -- End function
	.section	.AMDGPU.csdata,"",@progbits
; Kernel info:
; codeLenInByte = 12500
; NumSgprs: 28
; NumVgprs: 126
; ScratchSize: 0
; MemoryBound: 0
; FloatMode: 240
; IeeeMode: 1
; LDSByteSize: 0 bytes/workgroup (compile time only)
; SGPRBlocks: 3
; VGPRBlocks: 31
; NumSGPRsForWavesPerEU: 28
; NumVGPRsForWavesPerEU: 126
; Occupancy: 2
; WaveLimiterHint : 1
; COMPUTE_PGM_RSRC2:SCRATCH_EN: 0
; COMPUTE_PGM_RSRC2:USER_SGPR: 6
; COMPUTE_PGM_RSRC2:TRAP_HANDLER: 0
; COMPUTE_PGM_RSRC2:TGID_X_EN: 1
; COMPUTE_PGM_RSRC2:TGID_Y_EN: 0
; COMPUTE_PGM_RSRC2:TGID_Z_EN: 0
; COMPUTE_PGM_RSRC2:TIDIG_COMP_CNT: 0
	.type	__hip_cuid_a8b95314a339eafa,@object ; @__hip_cuid_a8b95314a339eafa
	.section	.bss,"aw",@nobits
	.globl	__hip_cuid_a8b95314a339eafa
__hip_cuid_a8b95314a339eafa:
	.byte	0                               ; 0x0
	.size	__hip_cuid_a8b95314a339eafa, 1

	.ident	"AMD clang version 19.0.0git (https://github.com/RadeonOpenCompute/llvm-project roc-6.4.0 25133 c7fe45cf4b819c5991fe208aaa96edf142730f1d)"
	.section	".note.GNU-stack","",@progbits
	.addrsig
	.addrsig_sym __hip_cuid_a8b95314a339eafa
	.amdgpu_metadata
---
amdhsa.kernels:
  - .args:
      - .actual_access:  read_only
        .address_space:  global
        .offset:         0
        .size:           8
        .value_kind:     global_buffer
      - .offset:         8
        .size:           8
        .value_kind:     by_value
      - .actual_access:  read_only
        .address_space:  global
        .offset:         16
        .size:           8
        .value_kind:     global_buffer
      - .actual_access:  read_only
        .address_space:  global
        .offset:         24
        .size:           8
        .value_kind:     global_buffer
      - .offset:         32
        .size:           8
        .value_kind:     by_value
      - .actual_access:  read_only
        .address_space:  global
        .offset:         40
        .size:           8
        .value_kind:     global_buffer
      - .actual_access:  read_only
        .address_space:  global
        .offset:         48
        .size:           8
        .value_kind:     global_buffer
      - .offset:         56
        .size:           4
        .value_kind:     by_value
      - .actual_access:  read_only
        .address_space:  global
        .offset:         64
        .size:           8
        .value_kind:     global_buffer
      - .actual_access:  read_only
        .address_space:  global
        .offset:         72
        .size:           8
        .value_kind:     global_buffer
      - .address_space:  global
        .offset:         80
        .size:           8
        .value_kind:     global_buffer
    .group_segment_fixed_size: 0
    .kernarg_segment_align: 8
    .kernarg_segment_size: 88
    .language:       OpenCL C
    .language_version:
      - 2
      - 0
    .max_flat_workgroup_size: 255
    .name:           fft_rtc_fwd_len935_factors_17_11_5_wgs_255_tpt_85_halfLds_sp_ip_CI_sbrr_dirReg
    .private_segment_fixed_size: 0
    .sgpr_count:     28
    .sgpr_spill_count: 0
    .symbol:         fft_rtc_fwd_len935_factors_17_11_5_wgs_255_tpt_85_halfLds_sp_ip_CI_sbrr_dirReg.kd
    .uniform_work_group_size: 1
    .uses_dynamic_stack: false
    .vgpr_count:     126
    .vgpr_spill_count: 0
    .wavefront_size: 64
amdhsa.target:   amdgcn-amd-amdhsa--gfx906
amdhsa.version:
  - 1
  - 2
...

	.end_amdgpu_metadata
